;; amdgpu-corpus repo=ROCm/aiter kind=harvested arch=n/a opt=n/a

/root/src/amdgpu-assembly/repos/ROCm__aiter/hsa/gfx942/pa/pa_bf16_pertokenFp8_gqa10_1tg_4w_qlen1_msk1.co:	file format elf64-amdgpu

Disassembly of section .text:

0000000000002100 <_ZN5aiter43pa_bf16_pertokenFp8_gqa10_1tg_4w_qlen1_msk1E>:
	s_and_b32 s1, s1, 0xffff                                   // 000000002100: 8601FF01 0000FFFF
	s_load_dwordx2 s[4:5], s[0:1], 0x0                         // 000000002108: C0060100 00000000
	s_load_dwordx2 s[8:9], s[0:1], 0x10                        // 000000002110: C0060200 00000010
	s_load_dwordx2 s[12:13], s[0:1], 0x20                      // 000000002118: C0060300 00000020
	s_load_dwordx2 s[16:17], s[0:1], 0x30                      // 000000002120: C0060400 00000030
	s_load_dwordx2 s[20:21], s[0:1], 0x40                      // 000000002128: C0060500 00000040
	s_load_dwordx2 s[24:25], s[0:1], 0x50                      // 000000002130: C0060600 00000050
	s_load_dwordx2 s[28:29], s[0:1], 0x60                      // 000000002138: C0060700 00000060
	s_load_dwordx2 s[32:33], s[0:1], 0x70                      // 000000002140: C0060800 00000070
	s_load_dword s51, s[0:1], 0x80                             // 000000002148: C0020CC0 00000080
	s_load_dword s52, s[0:1], 0x90                             // 000000002150: C0020D00 00000090
	s_load_dword s53, s[0:1], 0xa0                             // 000000002158: C0020D40 000000A0
	s_load_dword s54, s[0:1], 0xb0                             // 000000002160: C0020D80 000000B0
	s_load_dword s56, s[0:1], 0xc0                             // 000000002168: C0020E00 000000C0
	s_load_dword s57, s[0:1], 0xd0                             // 000000002170: C0020E40 000000D0
	v_lshrrev_b32_e32 v1, 10, v0                               // 000000002178: 2002008A
	v_lshrrev_b32_e32 v2, 10, v1                               // 00000000217C: 2004028A
	v_and_b32_e32 v2, 0x3ff, v2                                // 000000002180: 260404FF 000003FF
	v_and_b32_e32 v1, 0x3ff, v1                                // 000000002188: 260202FF 000003FF
	v_and_b32_e32 v0, 0x3ff, v0                                // 000000002190: 260000FF 000003FF
	v_lshrrev_b32_e32 v3, 6, v0                                // 000000002198: 20060086
	v_and_b32_e32 v0, 63, v0                                   // 00000000219C: 260000BF
	s_mov_b32 s47, s2                                          // 0000000021A0: BEAF0002
	s_mov_b32 s48, s3                                          // 0000000021A4: BEB00003
	v_readfirstlane_b32 s46, v3                                // 0000000021A8: 7E5C0503
	s_mov_b32 s42, 0x7060302                                   // 0000000021AC: BEAA00FF 07060302
	s_mov_b32 s43, 0x400                                       // 0000000021B4: BEAB00FF 00000400
	s_mov_b32 s44, 0x40100                                     // 0000000021BC: BEAC00FF 00040100
	s_mov_b32 s45, 0x4020100                                   // 0000000021C4: BEAD00FF 04020100
	v_mov_b32_e32 v100, 0xffff0000                             // 0000000021CC: 7EC802FF FFFF0000
	v_mov_b32_e32 v101, 0x7fff0000                             // 0000000021D4: 7ECA02FF 7FFF0000
	v_mov_b32_e32 v102, 0x7fff                                 // 0000000021DC: 7ECC02FF 00007FFF
	v_mov_b32_e32 v105, 0xff800000                             // 0000000021E4: 7ED202FF FF800000
	v_mov_b32_e32 v96, 0xff800000                              // 0000000021EC: 7EC002FF FF800000
	v_mov_b64_e32 v[94:95], 0                                  // 0000000021F4: 7EBC7080
	v_mov_b32_e32 v98, 0                                       // 0000000021F8: 7EC40280
	v_mov_b64_e32 v[70:71], 0                                  // 0000000021FC: 7E8C7080
	v_mov_b32_e32 v56, 0                                       // 000000002200: 7E700280
	v_mov_b32_e32 v48, 0                                       // 000000002204: 7E600280
	v_mov_b32_e32 v57, 0                                       // 000000002208: 7E720280
	v_mov_b32_e32 v49, 0                                       // 00000000220C: 7E620280
	v_mov_b32_e32 v58, 0                                       // 000000002210: 7E740280
	v_mov_b32_e32 v50, 0                                       // 000000002214: 7E640280
	v_mov_b32_e32 v59, 0                                       // 000000002218: 7E760280
	v_mov_b32_e32 v51, 0                                       // 00000000221C: 7E660280
	v_mov_b32_e32 v60, 0                                       // 000000002220: 7E780280
	v_mov_b32_e32 v52, 0                                       // 000000002224: 7E680280
	v_mov_b32_e32 v61, 0                                       // 000000002228: 7E7A0280
	v_mov_b32_e32 v53, 0                                       // 00000000222C: 7E6A0280
	v_mov_b32_e32 v62, 0                                       // 000000002230: 7E7C0280
	v_mov_b32_e32 v54, 0                                       // 000000002234: 7E6C0280
	v_mov_b32_e32 v63, 0                                       // 000000002238: 7E7E0280
	v_mov_b32_e32 v55, 0                                       // 00000000223C: 7E6E0280
	s_waitcnt lgkmcnt(0)                                       // 000000002240: BF8CC07F
	s_lshl_b32 s40, s48, 2                                     // 000000002244: 8E288230
	s_and_b32 s25, s25, 0xffff                                 // 000000002248: 8619FF19 0000FFFF
	s_add_u32 s24, s24, s40                                    // 000000002250: 80182818
	s_addc_u32 s25, s25, 0                                     // 000000002254: 82198019
	s_load_dword s59, s[24:25], 0x0                            // 000000002258: C0020ECC 00000000
	s_mul_i32 s40, s48, s52                                    // 000000002260: 92283430
	s_lshl_b32 s40, s40, 2                                     // 000000002264: 8E288228
	s_and_b32 s21, s21, 0xffff                                 // 000000002268: 8615FF15 0000FFFF
	s_add_u32 s20, s20, s40                                    // 000000002270: 80142814
	s_addc_u32 s21, s21, 0                                     // 000000002274: 82158015
	s_load_dword s60, s[20:21], 0x0                            // 000000002278: C0020F0A 00000000
	s_mov_b32 s10, 0x80000000                                  // 000000002280: BE8A00FF 80000000
	s_mov_b32 s11, 0x20000                                     // 000000002288: BE8B00FF 00020000
	s_and_b32 s9, s9, 0xffff                                   // 000000002290: 8609FF09 0000FFFF
	s_or_b32 s9, s9, 0                                         // 000000002298: 87098009
	s_mov_b32 s6, 0x80000000                                   // 00000000229C: BE8600FF 80000000
	s_mov_b32 s7, 0x20000                                      // 0000000022A4: BE8700FF 00020000
	s_and_b32 s5, s5, 0xffff                                   // 0000000022AC: 8605FF05 0000FFFF
	s_or_b32 s5, s5, 0                                         // 0000000022B4: 87058005
	s_mul_i32 s40, s48, s54                                    // 0000000022B8: 92283630
	s_mul_i32 s41, s47, 0xa00                                  // 0000000022BC: 9229FF2F 00000A00
	s_add_u32 s40, s40, s41                                    // 0000000022C4: 80282928
	s_add_u32 s8, s8, s40                                      // 0000000022C8: 80082808
	s_addc_u32 s9, s9, 0                                       // 0000000022CC: 82098009
	s_mov_b32 s10, 0xa00                                       // 0000000022D0: BE8A00FF 00000A00
	s_mul_i32 s55, s53, 0xa00                                  // 0000000022D8: 9237FF35 00000A00
	s_mul_i32 s40, s48, s55                                    // 0000000022E0: 92283730
	s_mul_i32 s41, s47, 0xa00                                  // 0000000022E4: 9229FF2F 00000A00
	s_add_u32 s40, s40, s41                                    // 0000000022EC: 80282928
	s_add_u32 s4, s4, s40                                      // 0000000022F0: 80042804
	s_addc_u32 s5, s5, 0                                       // 0000000022F4: 82058005
	s_mov_b32 s6, 0xa00                                        // 0000000022F8: BE8600FF 00000A00
	v_and_b32_e32 v73, 15, v0                                  // 000000002300: 2692008F
	v_lshlrev_b32_e32 v73, 4, v73                              // 000000002304: 24929284
	s_lshl_b32 s40, s46, 10                                    // 000000002308: 8E288A2E
	v_lshrrev_b32_e32 v72, 4, v0                               // 00000000230C: 20900084
	v_lshlrev_b32_e32 v72, 8, v72                              // 000000002310: 24909088
	v_add3_u32 v106, v72, v73, s40                             // 000000002314: D1FF006A 00A29348
	v_mov_b32_e32 v107, v106                                   // 00000000231C: 7ED6036A
	s_lshl_b32 s40, s46, 4                                     // 000000002320: 8E28842E
	v_and_b32_e32 v72, 15, v0                                  // 000000002324: 2690008F
	v_mul_i32_i24_e32 v72, 0x50, v72                           // 000000002328: 0C9090FF 00000050
	v_lshrrev_b32_e32 v73, 4, v0                               // 000000002330: 20920084
	v_lshlrev_b32_e32 v73, 2, v73                              // 000000002334: 24929282
	v_add3_u32 v116, v72, v73, s40                             // 000000002338: D1FF0074 00A29348
	v_and_b32_e32 v117, 15, v0                                 // 000000002340: 26EA008F
	v_lshlrev_b32_e32 v117, 2, v117                            // 000000002344: 24EAEA82
	s_mul_i32 s40, s46, 0x240                                  // 000000002348: 9228FF2E 00000240
	v_lshrrev_b32_e32 v72, 4, v0                               // 000000002350: 20900084
	v_lshlrev_b32_e32 v72, 7, v72                              // 000000002354: 24909087
	v_lshrrev_b32_e32 v73, 5, v0                               // 000000002358: 20920085
	v_lshlrev_b32_e32 v73, 5, v73                              // 00000000235C: 24929285
	v_and_b32_e32 v74, 15, v0                                  // 000000002360: 2694008F
	v_lshlrev_b32_e32 v74, 3, v74                              // 000000002364: 24949483
	v_add3_u32 v72, v72, v73, v74                              // 000000002368: D1FF0048 052A9348
	v_add_u32_e32 v118, s40, v72                               // 000000002370: 68EC9028
	v_and_b32_e32 v72, 15, v0                                  // 000000002374: 2690008F
	v_lshlrev_b32_e32 v73, 7, v72                              // 000000002378: 24929087
	v_lshrrev_b32_e32 v72, 1, v72                              // 00000000237C: 20909081
	v_lshlrev_b32_e32 v72, 5, v72                              // 000000002380: 24909085
	v_lshrrev_b32_e32 v74, 4, v0                               // 000000002384: 20940084
	v_lshlrev_b32_e32 v74, 4, v74                              // 000000002388: 24949484
	v_add3_u32 v119, v72, v73, v74                             // 00000000238C: D1FF0077 052A9348
	s_mul_i32 s40, s46, 0x240                                  // 000000002394: 9228FF2E 00000240
	v_lshrrev_b32_e32 v72, 5, v0                               // 00000000239C: 20900085
	v_mul_i32_i24_e32 v72, 0x120, v72                          // 0000000023A0: 0C9090FF 00000120
	v_lshrrev_b32_e32 v73, 4, v0                               // 0000000023A8: 20920084
	v_and_b32_e32 v73, 1, v73                                  // 0000000023AC: 26929281
	v_lshlrev_b32_e32 v73, 3, v73                              // 0000000023B0: 24929283
	v_and_b32_e32 v74, 15, v0                                  // 0000000023B4: 2694008F
	v_lshlrev_b32_e32 v74, 4, v74                              // 0000000023B8: 24949484
	v_add3_u32 v120, v72, v73, v74                             // 0000000023BC: D1FF0078 052A9348
	v_add_u32_e32 v120, s40, v120                              // 0000000023C4: 68F0F028
	s_lshl_b32 s40, s46, 6                                     // 0000000023C8: 8E28862E
	v_lshrrev_b32_e32 v72, 4, v0                               // 0000000023CC: 20900084
	v_lshlrev_b32_e32 v72, 4, v72                              // 0000000023D0: 24909084
	v_and_b32_e32 v73, 15, v0                                  // 0000000023D4: 2692008F
	v_mul_i32_i24_e32 v73, 0x120, v73                          // 0000000023D8: 0C9292FF 00000120
	v_add3_u32 v121, v72, v73, s40                             // 0000000023E0: D1FF0079 00A29348
	buffer_load_dwordx4 v[4:7], v106, s[8:11], 0 offen         // 0000000023E8: E05C1000 8002046A
	s_mov_b32 s14, 0x80000000                                  // 0000000023F0: BE8E00FF 80000000
	s_mov_b32 s15, 0x20000                                     // 0000000023F8: BE8F00FF 00020000
	s_and_b32 s13, s13, 0xffff                                 // 000000002400: 860DFF0D 0000FFFF
	s_or_b32 s13, s13, 0                                       // 000000002408: 870D800D
	s_mul_i32 s40, s47, s57                                    // 00000000240C: 9228392F
	s_mul_i32 s41, s46, 0x100                                  // 000000002410: 9229FF2E 00000100
	s_add_u32 s41, s40, s41                                    // 000000002418: 80292928
	s_add_u32 s76, s12, s41                                    // 00000000241C: 804C290C
	s_addc_u32 s77, s13, 0                                     // 000000002420: 824D800D
	s_mov_b32 s18, 0x80000000                                  // 000000002424: BE9200FF 80000000
	s_mov_b32 s19, 0x20000                                     // 00000000242C: BE9300FF 00020000
	s_and_b32 s17, s17, 0xffff                                 // 000000002434: 8611FF11 0000FFFF
	s_or_b32 s17, s17, 0                                       // 00000000243C: 87118011
	s_add_u32 s78, s16, s41                                    // 000000002440: 804E2910
	s_addc_u32 s79, s17, 0                                     // 000000002444: 824F8011
	s_mov_b32 s30, 0x80000000                                  // 000000002448: BE9E00FF 80000000
	s_mov_b32 s31, 0x20000                                     // 000000002450: BE9F00FF 00020000
	s_and_b32 s29, s29, 0xffff                                 // 000000002458: 861DFF1D 0000FFFF
	s_or_b32 s29, s29, 0                                       // 000000002460: 871D801D
	s_mul_i32 s40, s47, 0x1000                                 // 000000002464: 9228FF2F 00001000
	s_mul_i32 s41, s46, 64                                     // 00000000246C: 9229C02E
	s_add_u32 s41, s40, s41                                    // 000000002470: 80292928
	s_add_u32 s80, s28, s41                                    // 000000002474: 8050291C
	s_addc_u32 s81, s29, 0                                     // 000000002478: 8251801D
	s_mov_b32 s34, 0x80000000                                  // 00000000247C: BEA200FF 80000000
	s_mov_b32 s35, 0x20000                                     // 000000002484: BEA300FF 00020000
	s_and_b32 s33, s33, 0xffff                                 // 00000000248C: 8621FF21 0000FFFF
	s_or_b32 s33, s33, 0                                       // 000000002494: 87218021
	s_add_u32 s82, s32, s41                                    // 000000002498: 80522920
	s_addc_u32 s83, s33, 0                                     // 00000000249C: 82538021
	v_lshrrev_b32_e32 v72, 4, v0                               // 0000000024A0: 20900084
	v_and_b32_e32 v73, 15, v0                                  // 0000000024A4: 2692008F
	v_lshlrev_b32_e32 v74, 4, v73                              // 0000000024A8: 24949284
	v_mul_i32_i24_e32 v108, 0x4000, v72                        // 0000000024AC: 0CD890FF 00004000
	v_add_u32_e32 v108, v74, v108                              // 0000000024B4: 68D8D94A
	v_add_u32_e32 v109, 0x10000, v108                          // 0000000024B8: 68DAD8FF 00010000
	v_mul_i32_i24_e32 v110, 0x800, v72                         // 0000000024C0: 0CDC90FF 00000800
	v_add_u32_e32 v110, v74, v110                              // 0000000024C8: 68DCDD4A
	v_add_u32_e32 v111, 0x2000, v110                           // 0000000024CC: 68DEDCFF 00002000
	v_add_u32_e32 v112, 0x2000, v111                           // 0000000024D4: 68E0DEFF 00002000
	v_add_u32_e32 v113, 0x2000, v112                           // 0000000024DC: 68E2E0FF 00002000
	v_lshlrev_b32_e32 v72, 2, v72                              // 0000000024E4: 24909082
	v_lshrrev_b32_e32 v73, 2, v73                              // 0000000024E8: 20929282
	v_lshlrev_b32_e32 v73, 6, v73                              // 0000000024EC: 24929286
	v_and_b32_e32 v74, 3, v0                                   // 0000000024F0: 26940083
	v_add3_u32 v72, v72, v73, v74                              // 0000000024F4: D1FF0048 052A9348
	v_lshlrev_b32_e32 v114, 2, v72                             // 0000000024FC: 24E49082
	v_mov_b32_e32 v115, v114                                   // 000000002500: 7EE60372
	s_waitcnt lgkmcnt(0)                                       // 000000002504: BF8CC07F
	s_mul_i32 s63, s60, s56                                    // 000000002508: 923F383C
	s_mov_b32 s64, s63                                         // 00000000250C: BEC0003F
	s_mul_i32 s58, 0x1000, s53                                 // 000000002510: 923A35FF 00001000
	s_mul_i32 s65, s60, s58                                    // 000000002518: 92413A3C
	s_add_u32 s12, s76, s63                                    // 00000000251C: 800C3F4C
	s_addc_u32 s13, s77, 0                                     // 000000002520: 820D804D
	s_add_u32 s16, s78, s64                                    // 000000002524: 8010404E
	s_addc_u32 s17, s79, 0                                     // 000000002528: 8211804F
	s_add_u32 s28, s80, s65                                    // 00000000252C: 801C4150
	s_addc_u32 s29, s81, 0                                     // 000000002530: 821D8051
	s_add_u32 s32, s82, s65                                    // 000000002534: 80204152
	s_addc_u32 s33, s83, 0                                     // 000000002538: 82218053
	s_add_u32 s63, s63, 0x1000                                 // 00000000253C: 803FFF3F 00001000
	s_add_u32 s64, s64, 0x8000                                 // 000000002544: 8040FF40 00008000
	s_add_u32 s65, s65, 0x400                                  // 00000000254C: 8041FF41 00000400
	buffer_load_dwordx4 a[0:3], v108, s[12:15], 0 offen        // 000000002554: E05C1000 8083006C
	buffer_load_dwordx4 a[4:7], v109, s[12:15], 0 offen        // 00000000255C: E05C1000 8083046D
	buffer_load_dwordx4 a[8:11], v108, s[12:15], 0 offen offset:1024// 000000002564: E05C1400 8083086C
	buffer_load_dwordx4 a[12:15], v109, s[12:15], 0 offen offset:1024// 00000000256C: E05C1400 80830C6D
	buffer_load_dwordx4 a[16:19], v108, s[12:15], 0 offen offset:2048// 000000002574: E05C1800 8083106C
	buffer_load_dwordx4 a[20:23], v109, s[12:15], 0 offen offset:2048// 00000000257C: E05C1800 8083146D
	buffer_load_dwordx4 a[24:27], v108, s[12:15], 0 offen offset:3072// 000000002584: E05C1C00 8083186C
	buffer_load_dwordx4 a[28:31], v109, s[12:15], 0 offen offset:3072// 00000000258C: E05C1C00 80831C6D
	buffer_load_dword v66, v114, s[28:31], 0 offen             // 000000002594: E0501000 80074272
	buffer_load_dword v68, v115, s[32:35], 0 offen             // 00000000259C: E0501000 80084473
	buffer_load_dwordx4 a[64:67], v110, s[16:19], 0 offen      // 0000000025A4: E05C1000 8084406E
	buffer_load_dwordx4 a[68:71], v111, s[16:19], 0 offen      // 0000000025AC: E05C1000 8084446F
	buffer_load_dwordx4 a[72:75], v112, s[16:19], 0 offen      // 0000000025B4: E05C1000 80844870
	buffer_load_dwordx4 a[76:79], v113, s[16:19], 0 offen      // 0000000025BC: E05C1000 80844C71
	buffer_load_dwordx4 a[80:83], v110, s[16:19], 0 offen offset:1024// 0000000025C4: E05C1400 8084506E
	buffer_load_dwordx4 a[84:87], v111, s[16:19], 0 offen offset:1024// 0000000025CC: E05C1400 8084546F
	buffer_load_dwordx4 a[88:91], v112, s[16:19], 0 offen offset:1024// 0000000025D4: E05C1400 80845870
	buffer_load_dwordx4 a[92:95], v113, s[16:19], 0 offen offset:1024// 0000000025DC: E05C1400 80845C71
	s_lshl_b32 s40, s46, 6                                     // 0000000025E4: 8E28862E
	v_add_u32_e32 v122, s40, v0                                // 0000000025E8: 68F40028
	v_lshlrev_b32_e32 v122, 2, v122                            // 0000000025EC: 24F4F482
	v_and_b32_e32 v123, 15, v0                                 // 0000000025F0: 26F6008F
	v_lshlrev_b32_e32 v123, 2, v123                            // 0000000025F4: 24F6F682
	s_lshl_b32 s40, s46, 8                                     // 0000000025F8: 8E28882E
	v_and_b32_e32 v73, 15, v0                                  // 0000000025FC: 2692008F
	v_lshlrev_b32_e32 v73, 4, v73                              // 000000002600: 24929284
	v_lshrrev_b32_e32 v74, 4, v0                               // 000000002604: 20940084
	v_lshlrev_b32_e32 v74, 2, v74                              // 000000002608: 24949482
	v_add3_u32 v124, v73, v74, s40                             // 00000000260C: D1FF007C 00A29549
	v_and_b32_e32 v72, 15, v0                                  // 000000002614: 2690008F
	v_lshlrev_b32_e32 v72, 4, v72                              // 000000002618: 24909084
	v_lshrrev_b32_e32 v73, 4, v0                               // 00000000261C: 20920084
	v_lshlrev_b32_e32 v73, 8, v73                              // 000000002620: 24929288
	v_add_u32_e32 v125, v72, v73                               // 000000002624: 68FA9348
	s_lshl_b32 s40, s46, 4                                     // 000000002628: 8E28842E
	v_lshrrev_b32_e32 v104, 4, v0                              // 00000000262C: 20D00084
	v_lshlrev_b32_e32 v104, 2, v104                            // 000000002630: 24D0D082
	v_add_u32_e32 v104, s40, v104                              // 000000002634: 68D0D028
	v_mov_b32_e32 v103, s59                                    // 000000002638: 7ECE023B
	s_waitcnt vmcnt(18)                                        // 00000000263C: BF8C4F72
	v_lshlrev_b32_e32 v8, 16, v4                               // 000000002640: 24100890
	v_and_b32_e32 v9, 0xffff0000, v4                           // 000000002644: 261208FF FFFF0000
	v_lshlrev_b32_e32 v10, 16, v5                              // 00000000264C: 24140A90
	v_and_b32_e32 v11, 0xffff0000, v5                          // 000000002650: 26160AFF FFFF0000
	v_lshlrev_b32_e32 v12, 16, v6                              // 000000002658: 24180C90
	v_and_b32_e32 v13, 0xffff0000, v6                          // 00000000265C: 261A0CFF FFFF0000
	v_lshlrev_b32_e32 v14, 16, v7                              // 000000002664: 241C0E90
	v_and_b32_e32 v15, 0xffff0000, v7                          // 000000002668: 261E0EFF FFFF0000
	v_mov_b32_e32 v92, 0x358637bd                              // 000000002670: 7EB802FF 358637BD
	v_max3_f32 v92, |v8|, |v9|, v92                            // 000000002678: D1D3035C 05721308
	v_max3_f32 v92, |v10|, |v11|, v92                          // 000000002680: D1D3035C 0572170A
	v_max3_f32 v92, |v12|, |v13|, v92                          // 000000002688: D1D3035C 05721B0C
	v_max3_f32 v92, |v14|, |v15|, v92                          // 000000002690: D1D3035C 05721F0E
	ds_write_b32 v116, v92 offset:1280                         // 000000002698: D81A0500 00005C74
	s_waitcnt lgkmcnt(0)                                       // 0000000026A0: BF8CC07F
	s_barrier                                                  // 0000000026A4: BF8A0000
	ds_read_b32 v76, v117 offset:1280                          // 0000000026A8: D86C0500 4C000075
	ds_read_b32 v77, v117 offset:1360                          // 0000000026B0: D86C0550 4D000075
	ds_read_b32 v78, v117 offset:1440                          // 0000000026B8: D86C05A0 4E000075
	ds_read_b32 v79, v117 offset:1520                          // 0000000026C0: D86C05F0 4F000075
	ds_read_b32 v80, v117 offset:1600                          // 0000000026C8: D86C0640 50000075
	ds_read_b32 v81, v117 offset:1680                          // 0000000026D0: D86C0690 51000075
	ds_read_b32 v82, v117 offset:1760                          // 0000000026D8: D86C06E0 52000075
	ds_read_b32 v83, v117 offset:1840                          // 0000000026E0: D86C0730 53000075
	ds_read_b32 v84, v117 offset:1920                          // 0000000026E8: D86C0780 54000075
	ds_read_b32 v85, v117 offset:2000                          // 0000000026F0: D86C07D0 55000075
	ds_read_b32 v86, v117 offset:2080                          // 0000000026F8: D86C0820 56000075
	ds_read_b32 v87, v117 offset:2160                          // 000000002700: D86C0870 57000075
	ds_read_b32 v88, v117 offset:2240                          // 000000002708: D86C08C0 58000075
	ds_read_b32 v89, v117 offset:2320                          // 000000002710: D86C0910 59000075
	ds_read_b32 v90, v117 offset:2400                          // 000000002718: D86C0960 5A000075
	ds_read_b32 v91, v117 offset:2480                          // 000000002720: D86C09B0 5B000075
	s_waitcnt lgkmcnt(0)                                       // 000000002728: BF8CC07F
	v_mov_b32_e32 v92, 0x358637bd                              // 00000000272C: 7EB802FF 358637BD
	v_max3_f32 v92, v76, v77, v92                              // 000000002734: D1D3005C 05729B4C
	v_max3_f32 v92, v78, v79, v92                              // 00000000273C: D1D3005C 05729F4E
	v_max3_f32 v92, v80, v81, v92                              // 000000002744: D1D3005C 0572A350
	v_max3_f32 v92, v82, v83, v92                              // 00000000274C: D1D3005C 0572A752
	v_max3_f32 v92, v84, v85, v92                              // 000000002754: D1D3005C 0572AB54
	v_max3_f32 v92, v86, v87, v92                              // 00000000275C: D1D3005C 0572AF56
	v_max3_f32 v92, v88, v89, v92                              // 000000002764: D1D3005C 0572B358
	v_max3_f32 v92, v90, v91, v92                              // 00000000276C: D1D3005C 0572B75A
	v_rcp_f32_e32 v92, v92                                     // 000000002774: 7EB8455C
	s_lshl_b32 s40, s46, 2                                     // 000000002778: 8E28822E
	v_lshrrev_b32_e32 v74, 4, v0                               // 00000000277C: 20940084
	v_add_u32_e32 v74, s40, v74                                // 000000002780: 68949428
	v_lshlrev_b32_e32 v74, 2, v74                              // 000000002784: 24949482
	v_mul_f32_e32 v92, 0x43700000, v92                         // 000000002788: 0AB8B8FF 43700000
	ds_bpermute_b32 v72, v74, v92                              // 000000002790: D87E0000 48005C4A
	s_waitcnt lgkmcnt(0)                                       // 000000002798: BF8CC07F
	v_mul_f32_e32 v8, v8, v72                                  // 00000000279C: 0A109108
	v_mul_f32_e32 v9, v9, v72                                  // 0000000027A0: 0A129109
	v_mul_f32_e32 v10, v10, v72                                // 0000000027A4: 0A14910A
	v_mul_f32_e32 v11, v11, v72                                // 0000000027A8: 0A16910B
	v_mul_f32_e32 v12, v12, v72                                // 0000000027AC: 0A18910C
	v_mul_f32_e32 v13, v13, v72                                // 0000000027B0: 0A1A910D
	v_mul_f32_e32 v14, v14, v72                                // 0000000027B4: 0A1C910E
	v_mul_f32_e32 v15, v15, v72                                // 0000000027B8: 0A1E910F
	v_cvt_pk_fp8_f32 v8, v8, v9                                // 0000000027BC: D2A20008 00021308
	v_cvt_pk_fp8_f32 v8, v10, v11 op_sel:[0,0,1]               // 0000000027C4: D2A24008 0002170A
	v_cvt_pk_fp8_f32 v9, v12, v13                              // 0000000027CC: D2A20009 00021B0C
	v_cvt_pk_fp8_f32 v9, v14, v15 op_sel:[0,0,1]               // 0000000027D4: D2A24009 00021F0E
	ds_write_b64 v118, v[8:9] offset:2560                      // 0000000027DC: D89A0A00 00000876
	v_rcp_f32_e32 v64, v92                                     // 0000000027E4: 7E80455C
	s_nop 0                                                    // 0000000027E8: BF800000
	v_mov_b32_e32 v65, v64                                     // 0000000027EC: 7E820340
	s_waitcnt lgkmcnt(0)                                       // 0000000027F0: BF8CC07F
	s_barrier                                                  // 0000000027F4: BF8A0000
	ds_read_b128 v[8:11], v119 offset:2560                     // 0000000027F8: D9FE0A00 08000077
	ds_read_b128 v[12:15], v119 offset:2624                    // 000000002800: D9FE0A40 0C000077
	s_mov_b32 s86, s51                                         // 000000002808: BED60033
	s_mov_b32 s87, s51                                         // 00000000280C: BED70033
	s_sub_i32 s40, s59, 1                                      // 000000002810: 81A8813B
	s_and_b32 s50, s40, 0xffffff00                             // 000000002814: 8632FF28 FFFFFF00
	s_mov_b32 s49, 0                                           // 00000000281C: BEB10080
	s_mov_b32 s61, 0                                           // 000000002820: BEBD0080
	s_waitcnt lgkmcnt(0)                                       // 000000002824: BF8CC07F
	s_cmp_lt_i32 s46, 2                                        // 000000002828: BF04822E
	s_cbranch_scc0 label_097D                                  // 00000000282C: BF8407B1

0000000000002830 <label_01CC>:
	s_cmp_lt_i32 s49, s50                                      // 000000002830: BF043231
	s_cbranch_scc0 label_112E                                  // 000000002834: BF840F60
	s_waitcnt vmcnt(10)                                        // 000000002838: BF8C0F7A
	v_mfma_f32_16x16x32_fp8_fp8 v[16:19], a[0:1], v[8:9], 0    // 00000000283C: D3F30010 0A021100
	s_add_u32 s12, s76, s63                                    // 000000002844: 800C3F4C
	s_addc_u32 s13, s77, 0                                     // 000000002848: 820D804D
	v_mfma_f32_16x16x32_fp8_fp8 v[16:19], a[2:3], v[10:11], v[16:19]// 00000000284C: D3F30010 0C421502
	buffer_load_dwordx4 a[32:35], v108, s[12:15], 0 offen      // 000000002854: E05C1000 8083206C
	v_mfma_f32_16x16x32_fp8_fp8 v[16:19], a[4:5], v[12:13], v[16:19]// 00000000285C: D3F30010 0C421904
	s_add_u32 s16, s78, s64                                    // 000000002864: 8010404E
	s_addc_u32 s17, s79, 0                                     // 000000002868: 8211804F
	v_mfma_f32_16x16x32_fp8_fp8 v[16:19], a[6:7], v[14:15], v[16:19]// 00000000286C: D3F30010 0C421D06
	s_add_u32 s28, s80, s65                                    // 000000002874: 801C4150
	s_addc_u32 s29, s81, 0                                     // 000000002878: 821D8051
	v_mfma_f32_16x16x32_fp8_fp8 v[20:23], a[8:9], v[8:9], 0    // 00000000287C: D3F30014 0A021108
	s_add_u32 s32, s82, s65                                    // 000000002884: 80204152
	s_addc_u32 s33, s83, 0                                     // 000000002888: 82218053
	v_mfma_f32_16x16x32_fp8_fp8 v[20:23], a[10:11], v[10:11], v[20:23]// 00000000288C: D3F30014 0C52150A
	buffer_load_dwordx4 a[36:39], v109, s[12:15], 0 offen      // 000000002894: E05C1000 8083246D
	v_mfma_f32_16x16x32_fp8_fp8 v[20:23], a[12:13], v[12:13], v[20:23]// 00000000289C: D3F30014 0C52190C
	s_add_u32 s63, s63, 0x1000                                 // 0000000028A4: 803FFF3F 00001000
	s_add_u32 s64, s64, 0x8000                                 // 0000000028AC: 8040FF40 00008000
	v_mfma_f32_16x16x32_fp8_fp8 v[20:23], a[14:15], v[14:15], v[20:23]// 0000000028B4: D3F30014 0C521D0E
	s_add_u32 s65, s65, 0x400                                  // 0000000028BC: 8041FF41 00000400
	v_mfma_f32_16x16x32_fp8_fp8 v[24:27], a[16:17], v[8:9], 0  // 0000000028C4: D3F30018 0A021110
	v_mfma_f32_16x16x32_fp8_fp8 v[24:27], a[18:19], v[10:11], v[24:27]// 0000000028CC: D3F30018 0C621512
	buffer_load_dwordx4 a[40:43], v108, s[12:15], 0 offen offset:1024// 0000000028D4: E05C1400 8083286C
	v_mfma_f32_16x16x32_fp8_fp8 v[24:27], a[20:21], v[12:13], v[24:27]// 0000000028DC: D3F30018 0C621914
	v_mfma_f32_16x16x32_fp8_fp8 v[24:27], a[22:23], v[14:15], v[24:27]// 0000000028E4: D3F30018 0C621D16
	v_mfma_f32_16x16x32_fp8_fp8 v[28:31], a[24:25], v[8:9], 0  // 0000000028EC: D3F3001C 0A021118
	v_mfma_f32_16x16x32_fp8_fp8 v[28:31], a[26:27], v[10:11], v[28:31]// 0000000028F4: D3F3001C 0C72151A
	buffer_load_dwordx4 a[44:47], v109, s[12:15], 0 offen offset:1024// 0000000028FC: E05C1400 80832C6D
	v_mfma_f32_16x16x32_fp8_fp8 v[28:31], a[28:29], v[12:13], v[28:31]// 000000002904: D3F3001C 0C72191C
	v_mfma_f32_16x16x32_fp8_fp8 v[28:31], a[30:31], v[14:15], v[28:31]// 00000000290C: D3F3001C 0C721D1E
	s_waitcnt vmcnt(12)                                        // 000000002914: BF8C0F7C
	v_pk_mul_f32 v[16:17], v[64:65], v[16:17]                  // 000000002918: D3B14010 18022140
	v_pk_mul_f32 v[18:19], v[64:65], v[18:19]                  // 000000002920: D3B14012 18022540
	v_mul_f32_dpp v16, v66, v16 row_newbcast:0 row_mask:0xf bank_mask:0xf// 000000002928: 0A2020FA FF015042
	v_mul_f32_dpp v17, v66, v17 row_newbcast:1 row_mask:0xf bank_mask:0xf// 000000002930: 0A2222FA FF015142
	v_mul_f32_dpp v18, v66, v18 row_newbcast:2 row_mask:0xf bank_mask:0xf// 000000002938: 0A2424FA FF015242
	v_mul_f32_dpp v19, v66, v19 row_newbcast:3 row_mask:0xf bank_mask:0xf// 000000002940: 0A2626FA FF015342
	v_pk_mul_f32 v[20:21], v[64:65], v[20:21]                  // 000000002948: D3B14014 18022940
	v_pk_mul_f32 v[22:23], v[64:65], v[22:23]                  // 000000002950: D3B14016 18022D40
	v_mul_f32_dpp v20, v66, v20 row_newbcast:4 row_mask:0xf bank_mask:0xf// 000000002958: 0A2828FA FF015442
	v_mul_f32_dpp v21, v66, v21 row_newbcast:5 row_mask:0xf bank_mask:0xf// 000000002960: 0A2A2AFA FF015542
	v_mul_f32_dpp v22, v66, v22 row_newbcast:6 row_mask:0xf bank_mask:0xf// 000000002968: 0A2C2CFA FF015642
	v_mul_f32_dpp v23, v66, v23 row_newbcast:7 row_mask:0xf bank_mask:0xf// 000000002970: 0A2E2EFA FF015742
	v_pk_mul_f32 v[24:25], v[64:65], v[24:25]                  // 000000002978: D3B14018 18023140
	v_pk_mul_f32 v[26:27], v[64:65], v[26:27]                  // 000000002980: D3B1401A 18023540
	v_mul_f32_dpp v24, v66, v24 row_newbcast:8 row_mask:0xf bank_mask:0xf// 000000002988: 0A3030FA FF015842
	v_mul_f32_dpp v25, v66, v25 row_newbcast:9 row_mask:0xf bank_mask:0xf// 000000002990: 0A3232FA FF015942
	v_mul_f32_dpp v26, v66, v26 row_newbcast:10 row_mask:0xf bank_mask:0xf// 000000002998: 0A3434FA FF015A42
	v_mul_f32_dpp v27, v66, v27 row_newbcast:11 row_mask:0xf bank_mask:0xf// 0000000029A0: 0A3636FA FF015B42
	v_pk_mul_f32 v[28:29], v[64:65], v[28:29]                  // 0000000029A8: D3B1401C 18023940
	v_pk_mul_f32 v[30:31], v[64:65], v[30:31]                  // 0000000029B0: D3B1401E 18023D40
	v_mul_f32_dpp v28, v66, v28 row_newbcast:12 row_mask:0xf bank_mask:0xf// 0000000029B8: 0A3838FA FF015C42
	v_mul_f32_dpp v29, v66, v29 row_newbcast:13 row_mask:0xf bank_mask:0xf// 0000000029C0: 0A3A3AFA FF015D42
	v_mul_f32_dpp v30, v66, v30 row_newbcast:14 row_mask:0xf bank_mask:0xf// 0000000029C8: 0A3C3CFA FF015E42
	v_mul_f32_dpp v31, v66, v31 row_newbcast:15 row_mask:0xf bank_mask:0xf// 0000000029D0: 0A3E3EFA FF015F42
	buffer_load_dwordx4 a[48:51], v108, s[12:15], 0 offen offset:2048// 0000000029D8: E05C1800 8083306C
	v_mov_b32_e32 v92, v16                                     // 0000000029E0: 7EB80310
	v_max3_f32 v92, v16, v17, v92                              // 0000000029E4: D1D3005C 05722310
	v_max3_f32 v92, v18, v19, v92                              // 0000000029EC: D1D3005C 05722712
	v_max3_f32 v92, v20, v21, v92                              // 0000000029F4: D1D3005C 05722B14
	v_max3_f32 v92, v22, v23, v92                              // 0000000029FC: D1D3005C 05722F16
	v_max3_f32 v92, v24, v25, v92                              // 000000002A04: D1D3005C 05723318
	v_max3_f32 v92, v26, v27, v92                              // 000000002A0C: D1D3005C 0572371A
	v_max3_f32 v92, v28, v29, v92                              // 000000002A14: D1D3005C 05723B1C
	v_max3_f32 v92, v30, v31, v92                              // 000000002A1C: D1D3005C 05723F1E
	ds_write_b32 v122, v92                                     // 000000002A24: D81A0000 00005C7A
	v_pk_mul_f32 v[56:57], v[94:95], v[56:57]                  // 000000002A2C: D3B14038 1802715E
	v_pk_mul_f32 v[58:59], v[94:95], v[58:59]                  // 000000002A34: D3B1403A 1802755E
	v_pk_mul_f32 v[60:61], v[94:95], v[60:61]                  // 000000002A3C: D3B1403C 1802795E
	v_pk_mul_f32 v[62:63], v[94:95], v[62:63]                  // 000000002A44: D3B1403E 18027D5E
	buffer_load_dwordx4 a[52:55], v109, s[12:15], 0 offen offset:2048// 000000002A4C: E05C1800 8083346D
	s_waitcnt lgkmcnt(0)                                       // 000000002A54: BF8CC07F
	s_barrier                                                  // 000000002A58: BF8A0000
	ds_read_b32 v76, v123                                      // 000000002A5C: D86C0000 4C00007B
	ds_read_b32 v77, v123 offset:64                            // 000000002A64: D86C0040 4D00007B
	ds_read_b32 v78, v123 offset:128                           // 000000002A6C: D86C0080 4E00007B
	ds_read_b32 v79, v123 offset:192                           // 000000002A74: D86C00C0 4F00007B
	ds_read_b32 v80, v123 offset:256                           // 000000002A7C: D86C0100 5000007B
	ds_read_b32 v81, v123 offset:320                           // 000000002A84: D86C0140 5100007B
	ds_read_b32 v82, v123 offset:384                           // 000000002A8C: D86C0180 5200007B
	ds_read_b32 v83, v123 offset:448                           // 000000002A94: D86C01C0 5300007B
	ds_read_b32 v84, v123 offset:512                           // 000000002A9C: D86C0200 5400007B
	ds_read_b32 v85, v123 offset:576                           // 000000002AA4: D86C0240 5500007B
	ds_read_b32 v86, v123 offset:640                           // 000000002AAC: D86C0280 5600007B
	ds_read_b32 v87, v123 offset:704                           // 000000002AB4: D86C02C0 5700007B
	ds_read_b32 v88, v123 offset:768                           // 000000002ABC: D86C0300 5800007B
	ds_read_b32 v89, v123 offset:832                           // 000000002AC4: D86C0340 5900007B
	ds_read_b32 v90, v123 offset:896                           // 000000002ACC: D86C0380 5A00007B
	ds_read_b32 v91, v123 offset:960                           // 000000002AD4: D86C03C0 5B00007B
	buffer_load_dwordx4 a[60:63], v109, s[12:15], 0 offen offset:3072// 000000002ADC: E05C1C00 80833C6D
	v_pk_mul_f32 v[48:49], v[70:71], v[48:49]                  // 000000002AE4: D3B14030 18026146
	v_pk_mul_f32 v[50:51], v[70:71], v[50:51]                  // 000000002AEC: D3B14032 18026546
	v_pk_mul_f32 v[52:53], v[70:71], v[52:53]                  // 000000002AF4: D3B14034 18026946
	v_pk_mul_f32 v[54:55], v[70:71], v[54:55]                  // 000000002AFC: D3B14036 18026D46
	buffer_load_dwordx4 a[56:59], v108, s[12:15], 0 offen offset:3072// 000000002B04: E05C1C00 8083386C
	s_waitcnt lgkmcnt(0)                                       // 000000002B0C: BF8CC07F
	v_max3_f32 v92, v76, v77, v92                              // 000000002B10: D1D3005C 05729B4C
	v_max3_f32 v92, v78, v79, v92                              // 000000002B18: D1D3005C 05729F4E
	v_max3_f32 v92, v80, v81, v92                              // 000000002B20: D1D3005C 0572A350
	v_max3_f32 v92, v82, v83, v92                              // 000000002B28: D1D3005C 0572A752
	v_max3_f32 v92, v84, v85, v92                              // 000000002B30: D1D3005C 0572AB54
	v_max3_f32 v92, v86, v87, v92                              // 000000002B38: D1D3005C 0572AF56
	v_max3_f32 v92, v88, v89, v92                              // 000000002B40: D1D3005C 0572B358
	v_max3_f32 v92, v90, v91, v92                              // 000000002B48: D1D3005C 0572B75A
	v_max_f32_e32 v97, v92, v96                                // 000000002B50: 16C2C15C
	v_mul_f32_e64 v72, -s51, v97                               // 000000002B54: D1050048 2002C233
	v_mov_b32_e32 v73, v72                                     // 000000002B5C: 7E920348
	v_pk_fma_f32 v[16:17], v[16:17], s[86:87], v[72:73]        // 000000002B60: D3B04010 1D20AD10
	v_pk_fma_f32 v[18:19], v[18:19], s[86:87], v[72:73]        // 000000002B68: D3B04012 1D20AD12
	v_exp_f32_e32 v16, v16                                     // 000000002B70: 7E204110
	v_exp_f32_e32 v17, v17                                     // 000000002B74: 7E224111
	v_exp_f32_e32 v18, v18                                     // 000000002B78: 7E244112
	v_exp_f32_e32 v19, v19                                     // 000000002B7C: 7E264113
	v_pk_fma_f32 v[20:21], v[20:21], s[86:87], v[72:73]        // 000000002B80: D3B04014 1D20AD14
	v_pk_fma_f32 v[22:23], v[22:23], s[86:87], v[72:73]        // 000000002B88: D3B04016 1D20AD16
	v_exp_f32_e32 v20, v20                                     // 000000002B90: 7E284114
	v_exp_f32_e32 v21, v21                                     // 000000002B94: 7E2A4115
	v_exp_f32_e32 v22, v22                                     // 000000002B98: 7E2C4116
	v_exp_f32_e32 v23, v23                                     // 000000002B9C: 7E2E4117
	v_pk_fma_f32 v[24:25], v[24:25], s[86:87], v[72:73]        // 000000002BA0: D3B04018 1D20AD18
	v_pk_fma_f32 v[26:27], v[26:27], s[86:87], v[72:73]        // 000000002BA8: D3B0401A 1D20AD1A
	v_exp_f32_e32 v24, v24                                     // 000000002BB0: 7E304118
	v_exp_f32_e32 v25, v25                                     // 000000002BB4: 7E324119
	v_exp_f32_e32 v26, v26                                     // 000000002BB8: 7E34411A
	v_exp_f32_e32 v27, v27                                     // 000000002BBC: 7E36411B
	v_pk_fma_f32 v[28:29], v[28:29], s[86:87], v[72:73]        // 000000002BC0: D3B0401C 1D20AD1C
	v_pk_fma_f32 v[30:31], v[30:31], s[86:87], v[72:73]        // 000000002BC8: D3B0401E 1D20AD1E
	v_exp_f32_e32 v28, v28                                     // 000000002BD0: 7E38411C
	v_exp_f32_e32 v29, v29                                     // 000000002BD4: 7E3A411D
	v_exp_f32_e32 v30, v30                                     // 000000002BD8: 7E3C411E
	v_exp_f32_e32 v31, v31                                     // 000000002BDC: 7E3E411F
	v_mul_f32_dpp v32, v68, v16 row_newbcast:0 row_mask:0xf bank_mask:0xf// 000000002BE0: 0A4020FA FF015044
	v_mul_f32_dpp v33, v68, v17 row_newbcast:1 row_mask:0xf bank_mask:0xf// 000000002BE8: 0A4222FA FF015144
	v_mul_f32_dpp v34, v68, v18 row_newbcast:2 row_mask:0xf bank_mask:0xf// 000000002BF0: 0A4424FA FF015244
	v_mul_f32_dpp v35, v68, v19 row_newbcast:3 row_mask:0xf bank_mask:0xf// 000000002BF8: 0A4626FA FF015344
	v_mul_f32_dpp v36, v68, v20 row_newbcast:4 row_mask:0xf bank_mask:0xf// 000000002C00: 0A4828FA FF015444
	v_mul_f32_dpp v37, v68, v21 row_newbcast:5 row_mask:0xf bank_mask:0xf// 000000002C08: 0A4A2AFA FF015544
	v_mul_f32_dpp v38, v68, v22 row_newbcast:6 row_mask:0xf bank_mask:0xf// 000000002C10: 0A4C2CFA FF015644
	v_mul_f32_dpp v39, v68, v23 row_newbcast:7 row_mask:0xf bank_mask:0xf// 000000002C18: 0A4E2EFA FF015744
	v_mul_f32_dpp v40, v68, v24 row_newbcast:8 row_mask:0xf bank_mask:0xf// 000000002C20: 0A5030FA FF015844
	v_mul_f32_dpp v41, v68, v25 row_newbcast:9 row_mask:0xf bank_mask:0xf// 000000002C28: 0A5232FA FF015944
	v_mul_f32_dpp v42, v68, v26 row_newbcast:10 row_mask:0xf bank_mask:0xf// 000000002C30: 0A5434FA FF015A44
	v_mul_f32_dpp v43, v68, v27 row_newbcast:11 row_mask:0xf bank_mask:0xf// 000000002C38: 0A5636FA FF015B44
	v_mul_f32_dpp v44, v68, v28 row_newbcast:12 row_mask:0xf bank_mask:0xf// 000000002C40: 0A5838FA FF015C44
	v_mul_f32_dpp v45, v68, v29 row_newbcast:13 row_mask:0xf bank_mask:0xf// 000000002C48: 0A5A3AFA FF015D44
	v_mul_f32_dpp v46, v68, v30 row_newbcast:14 row_mask:0xf bank_mask:0xf// 000000002C50: 0A5C3CFA FF015E44
	v_mul_f32_dpp v47, v68, v31 row_newbcast:15 row_mask:0xf bank_mask:0xf// 000000002C58: 0A5E3EFA FF015F44
	v_mov_b32_e32 v92, 0x358637bd                              // 000000002C60: 7EB802FF 358637BD
	v_max3_f32 v92, |v32|, |v33|, v92                          // 000000002C68: D1D3035C 05724320
	v_max3_f32 v92, |v34|, |v35|, v92                          // 000000002C70: D1D3035C 05724722
	v_max3_f32 v92, |v36|, |v37|, v92                          // 000000002C78: D1D3035C 05724B24
	v_max3_f32 v92, |v38|, |v39|, v92                          // 000000002C80: D1D3035C 05724F26
	v_max3_f32 v92, |v40|, |v41|, v92                          // 000000002C88: D1D3035C 05725328
	v_max3_f32 v92, |v42|, |v43|, v92                          // 000000002C90: D1D3035C 0572572A
	v_max3_f32 v92, |v44|, |v45|, v92                          // 000000002C98: D1D3035C 05725B2C
	v_max3_f32 v92, |v46|, |v47|, v92                          // 000000002CA0: D1D3035C 05725F2E
	ds_write_b32 v122, v92 offset:1280                         // 000000002CA8: D81A0500 00005C7A
	buffer_load_dword v67, v114, s[28:31], 0 offen             // 000000002CB0: E0501000 80074372
	v_sub_f32_e32 v94, v96, v97                                // 000000002CB8: 04BCC360
	v_cmp_eq_u32_e64 s[84:85], v105, v96                       // 000000002CBC: D0CA0054 0002C169
	s_nop 0                                                    // 000000002CC4: BF800000
	v_cndmask_b32_e64 v94, v94, 0, s[84:85]                    // 000000002CC8: D100005E 0151015E
	v_mov_b32_e32 v96, v97                                     // 000000002CD0: 7EC00361
	v_mul_f32_e32 v94, s51, v94                                // 000000002CD4: 0ABCBC33
	v_exp_f32_e32 v94, v94                                     // 000000002CD8: 7EBC415E
	s_nop 0                                                    // 000000002CDC: BF800000
	v_mov_b32_e32 v95, v94                                     // 000000002CE0: 7EBE035E
	buffer_load_dword v69, v115, s[32:35], 0 offen             // 000000002CE4: E0501000 80084573
	s_waitcnt lgkmcnt(0)                                       // 000000002CEC: BF8CC07F
	s_barrier                                                  // 000000002CF0: BF8A0000
	ds_read_b32 v76, v123 offset:1280                          // 000000002CF4: D86C0500 4C00007B
	ds_read_b32 v77, v123 offset:1344                          // 000000002CFC: D86C0540 4D00007B
	ds_read_b32 v78, v123 offset:1408                          // 000000002D04: D86C0580 4E00007B
	ds_read_b32 v79, v123 offset:1472                          // 000000002D0C: D86C05C0 4F00007B
	ds_read_b32 v80, v123 offset:1536                          // 000000002D14: D86C0600 5000007B
	ds_read_b32 v81, v123 offset:1600                          // 000000002D1C: D86C0640 5100007B
	ds_read_b32 v82, v123 offset:1664                          // 000000002D24: D86C0680 5200007B
	ds_read_b32 v83, v123 offset:1728                          // 000000002D2C: D86C06C0 5300007B
	ds_read_b32 v84, v123 offset:1792                          // 000000002D34: D86C0700 5400007B
	ds_read_b32 v85, v123 offset:1856                          // 000000002D3C: D86C0740 5500007B
	ds_read_b32 v86, v123 offset:1920                          // 000000002D44: D86C0780 5600007B
	ds_read_b32 v87, v123 offset:1984                          // 000000002D4C: D86C07C0 5700007B
	ds_read_b32 v88, v123 offset:2048                          // 000000002D54: D86C0800 5800007B
	ds_read_b32 v89, v123 offset:2112                          // 000000002D5C: D86C0840 5900007B
	ds_read_b32 v90, v123 offset:2176                          // 000000002D64: D86C0880 5A00007B
	ds_read_b32 v91, v123 offset:2240                          // 000000002D6C: D86C08C0 5B00007B
	buffer_load_dwordx4 a[96:99], v110, s[16:19], 0 offen      // 000000002D74: E05C1000 8084606E
	v_mul_f32_e32 v98, v94, v98                                // 000000002D7C: 0AC4C55E
	v_add_f32_e32 v98, v16, v98                                // 000000002D80: 02C4C510
	v_add_f32_e32 v98, v17, v98                                // 000000002D84: 02C4C511
	v_add_f32_e32 v98, v18, v98                                // 000000002D88: 02C4C512
	v_add_f32_e32 v98, v19, v98                                // 000000002D8C: 02C4C513
	v_add_f32_e32 v98, v20, v98                                // 000000002D90: 02C4C514
	v_add_f32_e32 v98, v21, v98                                // 000000002D94: 02C4C515
	v_add_f32_e32 v98, v22, v98                                // 000000002D98: 02C4C516
	v_add_f32_e32 v98, v23, v98                                // 000000002D9C: 02C4C517
	v_add_f32_e32 v98, v24, v98                                // 000000002DA0: 02C4C518
	v_add_f32_e32 v98, v25, v98                                // 000000002DA4: 02C4C519
	v_add_f32_e32 v98, v26, v98                                // 000000002DA8: 02C4C51A
	v_add_f32_e32 v98, v27, v98                                // 000000002DAC: 02C4C51B
	v_add_f32_e32 v98, v28, v98                                // 000000002DB0: 02C4C51C
	v_add_f32_e32 v98, v29, v98                                // 000000002DB4: 02C4C51D
	v_add_f32_e32 v98, v30, v98                                // 000000002DB8: 02C4C51E
	v_add_f32_e32 v98, v31, v98                                // 000000002DBC: 02C4C51F
	buffer_load_dwordx4 a[100:103], v111, s[16:19], 0 offen    // 000000002DC0: E05C1000 8084646F
	s_waitcnt lgkmcnt(0)                                       // 000000002DC8: BF8CC07F
	v_max3_f32 v92, v76, v77, v92                              // 000000002DCC: D1D3005C 05729B4C
	v_max3_f32 v92, v78, v79, v92                              // 000000002DD4: D1D3005C 05729F4E
	v_max3_f32 v92, v80, v81, v92                              // 000000002DDC: D1D3005C 0572A350
	v_max3_f32 v92, v82, v83, v92                              // 000000002DE4: D1D3005C 0572A752
	v_max3_f32 v92, v84, v85, v92                              // 000000002DEC: D1D3005C 0572AB54
	v_max3_f32 v92, v86, v87, v92                              // 000000002DF4: D1D3005C 0572AF56
	v_max3_f32 v92, v88, v89, v92                              // 000000002DFC: D1D3005C 0572B358
	v_max3_f32 v92, v90, v91, v92                              // 000000002E04: D1D3005C 0572B75A
	v_rcp_f32_e32 v92, v92                                     // 000000002E0C: 7EB8455C
	s_nop 0                                                    // 000000002E10: BF800000
	v_mul_f32_e32 v92, 0x43700000, v92                         // 000000002E14: 0AB8B8FF 43700000
	v_mov_b32_e32 v93, v92                                     // 000000002E1C: 7EBA035C
	v_pk_mul_f32 v[16:17], v[92:93], v[32:33]                  // 000000002E20: D3B14010 1802415C
	v_pk_mul_f32 v[18:19], v[92:93], v[34:35]                  // 000000002E28: D3B14012 1802455C
	v_pk_mul_f32 v[20:21], v[92:93], v[36:37]                  // 000000002E30: D3B14014 1802495C
	v_pk_mul_f32 v[22:23], v[92:93], v[38:39]                  // 000000002E38: D3B14016 18024D5C
	v_pk_mul_f32 v[24:25], v[92:93], v[40:41]                  // 000000002E40: D3B14018 1802515C
	v_pk_mul_f32 v[26:27], v[92:93], v[42:43]                  // 000000002E48: D3B1401A 1802555C
	v_pk_mul_f32 v[28:29], v[92:93], v[44:45]                  // 000000002E50: D3B1401C 1802595C
	v_pk_mul_f32 v[30:31], v[92:93], v[46:47]                  // 000000002E58: D3B1401E 18025D5C
	v_cvt_pk_fp8_f32 v16, v16, v17                             // 000000002E60: D2A20010 00022310
	v_cvt_pk_fp8_f32 v16, v18, v19 op_sel:[0,0,1]              // 000000002E68: D2A24010 00022712
	v_cvt_pk_fp8_f32 v17, v20, v21                             // 000000002E70: D2A20011 00022B14
	v_cvt_pk_fp8_f32 v17, v22, v23 op_sel:[0,0,1]              // 000000002E78: D2A24011 00022F16
	v_cvt_pk_fp8_f32 v18, v24, v25                             // 000000002E80: D2A20012 00023318
	v_cvt_pk_fp8_f32 v18, v26, v27 op_sel:[0,0,1]              // 000000002E88: D2A24012 0002371A
	v_cvt_pk_fp8_f32 v19, v28, v29                             // 000000002E90: D2A20013 00023B1C
	v_cvt_pk_fp8_f32 v19, v30, v31 op_sel:[0,0,1]              // 000000002E98: D2A24013 00023F1E
	ds_write_b32 v124, v16 offset:2560                         // 000000002EA0: D81A0A00 0000107C
	ds_write_b32 v124, v17 offset:3584                         // 000000002EA8: D81A0E00 0000117C
	ds_write_b32 v124, v18 offset:4608                         // 000000002EB0: D81A1200 0000127C
	ds_write_b32 v124, v19 offset:5632                         // 000000002EB8: D81A1600 0000137C
	v_rcp_f32_e32 v70, v92                                     // 000000002EC0: 7E8C455C
	s_nop 0                                                    // 000000002EC4: BF800000
	v_mov_b32_e32 v71, v70                                     // 000000002EC8: 7E8E0346
	buffer_load_dwordx4 a[104:107], v112, s[16:19], 0 offen    // 000000002ECC: E05C1000 80846870
	v_pk_add_f32 v[56:57], v[56:57], v[48:49]                  // 000000002ED4: D3B24038 18026138
	v_pk_add_f32 v[58:59], v[58:59], v[50:51]                  // 000000002EDC: D3B2403A 1802653A
	v_pk_add_f32 v[60:61], v[60:61], v[52:53]                  // 000000002EE4: D3B2403C 1802693C
	v_pk_add_f32 v[62:63], v[62:63], v[54:55]                  // 000000002EEC: D3B2403E 18026D3E
	s_waitcnt lgkmcnt(0)                                       // 000000002EF4: BF8CC07F
	s_barrier                                                  // 000000002EF8: BF8A0000
	ds_read_b128 v[16:19], v125 offset:2560                    // 000000002EFC: D9FE0A00 1000007D
	ds_read_b128 v[20:23], v125 offset:3584                    // 000000002F04: D9FE0E00 1400007D
	ds_read_b128 v[24:27], v125 offset:4608                    // 000000002F0C: D9FE1200 1800007D
	ds_read_b128 v[28:31], v125 offset:5632                    // 000000002F14: D9FE1600 1C00007D
	buffer_load_dwordx4 a[108:111], v113, s[16:19], 0 offen    // 000000002F1C: E05C1000 80846C71
	s_waitcnt vmcnt(14)                                        // 000000002F24: BF8C0F7E
	s_waitcnt lgkmcnt(3)                                       // 000000002F28: BF8CC37F
	v_mfma_f32_16x16x32_fp8_fp8 v[48:51], a[64:65], v[16:17], 0// 000000002F2C: D3F30030 0A022140
	s_addk_i32 s61, 0x1                                        // 000000002F34: B73D0001
	v_mfma_f32_16x16x32_fp8_fp8 v[52:55], a[80:81], v[16:17], 0// 000000002F38: D3F30034 0A022150
	s_cmp_lt_u32 s61, s52                                      // 000000002F40: BF0A343D
	s_cselect_b32 s62, 4, 0                                    // 000000002F44: 853E8084
	v_mfma_f32_16x16x32_fp8_fp8 v[48:51], a[66:67], v[18:19], v[48:51]// 000000002F48: D3F30030 0CC22542
	s_add_u32 s20, s20, s62                                    // 000000002F50: 80143E14
	s_addc_u32 s21, s21, 0                                     // 000000002F54: 82158015
	v_mfma_f32_16x16x32_fp8_fp8 v[52:55], a[82:83], v[18:19], v[52:55]// 000000002F58: D3F30034 0CD22552
	buffer_load_dwordx4 a[112:115], v110, s[16:19], 0 offen offset:1024// 000000002F60: E05C1400 8084706E
	s_waitcnt lgkmcnt(2)                                       // 000000002F68: BF8CC27F
	v_mfma_f32_16x16x32_fp8_fp8 v[48:51], a[68:69], v[20:21], v[48:51]// 000000002F6C: D3F30030 0CC22944
	v_mfma_f32_16x16x32_fp8_fp8 v[52:55], a[84:85], v[20:21], v[52:55]// 000000002F74: D3F30034 0CD22954
	v_mfma_f32_16x16x32_fp8_fp8 v[48:51], a[70:71], v[22:23], v[48:51]// 000000002F7C: D3F30030 0CC22D46
	v_mfma_f32_16x16x32_fp8_fp8 v[52:55], a[86:87], v[22:23], v[52:55]// 000000002F84: D3F30034 0CD22D56
	buffer_load_dwordx4 a[116:119], v111, s[16:19], 0 offen offset:1024// 000000002F8C: E05C1400 8084746F
	s_waitcnt lgkmcnt(1)                                       // 000000002F94: BF8CC17F
	v_mfma_f32_16x16x32_fp8_fp8 v[48:51], a[72:73], v[24:25], v[48:51]// 000000002F98: D3F30030 0CC23148
	v_mfma_f32_16x16x32_fp8_fp8 v[52:55], a[88:89], v[24:25], v[52:55]// 000000002FA0: D3F30034 0CD23158
	v_mfma_f32_16x16x32_fp8_fp8 v[48:51], a[74:75], v[26:27], v[48:51]// 000000002FA8: D3F30030 0CC2354A
	v_mfma_f32_16x16x32_fp8_fp8 v[52:55], a[90:91], v[26:27], v[52:55]// 000000002FB0: D3F30034 0CD2355A
	buffer_load_dwordx4 a[120:123], v112, s[16:19], 0 offen offset:1024// 000000002FB8: E05C1400 80847870
	s_waitcnt lgkmcnt(0)                                       // 000000002FC0: BF8CC07F
	v_mfma_f32_16x16x32_fp8_fp8 v[48:51], a[76:77], v[28:29], v[48:51]// 000000002FC4: D3F30030 0CC2394C
	v_mfma_f32_16x16x32_fp8_fp8 v[52:55], a[92:93], v[28:29], v[52:55]// 000000002FCC: D3F30034 0CD2395C
	v_mfma_f32_16x16x32_fp8_fp8 v[48:51], a[78:79], v[30:31], v[48:51]// 000000002FD4: D3F30030 0CC23D4E
	v_mfma_f32_16x16x32_fp8_fp8 v[52:55], a[94:95], v[30:31], v[52:55]// 000000002FDC: D3F30034 0CD23D5E
	buffer_load_dwordx4 a[124:127], v113, s[16:19], 0 offen offset:1024// 000000002FE4: E05C1400 80847C71
	s_load_dword s60, s[20:21], 0x0                            // 000000002FEC: C0020F0A 00000000
	s_addk_i32 s49, 0x100                                      // 000000002FF4: B7310100
	s_cmp_lt_i32 s49, s50                                      // 000000002FF8: BF043231
	s_cbranch_scc0 label_1351                                  // 000000002FFC: BF840F91
	s_waitcnt vmcnt(10)                                        // 000000003000: BF8C0F7A
	v_mfma_f32_16x16x32_fp8_fp8 v[16:19], a[32:33], v[8:9], 0  // 000000003004: D3F30010 0A021120
	s_add_u32 s12, s76, s63                                    // 00000000300C: 800C3F4C
	s_addc_u32 s13, s77, 0                                     // 000000003010: 820D804D
	v_mfma_f32_16x16x32_fp8_fp8 v[16:19], a[34:35], v[10:11], v[16:19]// 000000003014: D3F30010 0C421522
	buffer_load_dwordx4 a[0:3], v108, s[12:15], 0 offen        // 00000000301C: E05C1000 8083006C
	v_mfma_f32_16x16x32_fp8_fp8 v[16:19], a[36:37], v[12:13], v[16:19]// 000000003024: D3F30010 0C421924
	s_add_u32 s16, s78, s64                                    // 00000000302C: 8010404E
	s_addc_u32 s17, s79, 0                                     // 000000003030: 8211804F
	v_mfma_f32_16x16x32_fp8_fp8 v[16:19], a[38:39], v[14:15], v[16:19]// 000000003034: D3F30010 0C421D26
	s_add_u32 s28, s80, s65                                    // 00000000303C: 801C4150
	s_addc_u32 s29, s81, 0                                     // 000000003040: 821D8051
	v_mfma_f32_16x16x32_fp8_fp8 v[20:23], a[40:41], v[8:9], 0  // 000000003044: D3F30014 0A021128
	s_add_u32 s32, s82, s65                                    // 00000000304C: 80204152
	s_addc_u32 s33, s83, 0                                     // 000000003050: 82218053
	v_mfma_f32_16x16x32_fp8_fp8 v[20:23], a[42:43], v[10:11], v[20:23]// 000000003054: D3F30014 0C52152A
	buffer_load_dwordx4 a[4:7], v109, s[12:15], 0 offen        // 00000000305C: E05C1000 8083046D
	v_mfma_f32_16x16x32_fp8_fp8 v[20:23], a[44:45], v[12:13], v[20:23]// 000000003064: D3F30014 0C52192C
	s_add_u32 s63, s63, 0x1000                                 // 00000000306C: 803FFF3F 00001000
	s_add_u32 s64, s64, 0x8000                                 // 000000003074: 8040FF40 00008000
	v_mfma_f32_16x16x32_fp8_fp8 v[20:23], a[46:47], v[14:15], v[20:23]// 00000000307C: D3F30014 0C521D2E
	s_add_u32 s65, s65, 0x400                                  // 000000003084: 8041FF41 00000400
	v_mfma_f32_16x16x32_fp8_fp8 v[24:27], a[48:49], v[8:9], 0  // 00000000308C: D3F30018 0A021130
	v_mfma_f32_16x16x32_fp8_fp8 v[24:27], a[50:51], v[10:11], v[24:27]// 000000003094: D3F30018 0C621532
	buffer_load_dwordx4 a[8:11], v108, s[12:15], 0 offen offset:1024// 00000000309C: E05C1400 8083086C
	v_mfma_f32_16x16x32_fp8_fp8 v[24:27], a[52:53], v[12:13], v[24:27]// 0000000030A4: D3F30018 0C621934
	v_mfma_f32_16x16x32_fp8_fp8 v[24:27], a[54:55], v[14:15], v[24:27]// 0000000030AC: D3F30018 0C621D36
	v_mfma_f32_16x16x32_fp8_fp8 v[28:31], a[56:57], v[8:9], 0  // 0000000030B4: D3F3001C 0A021138
	v_mfma_f32_16x16x32_fp8_fp8 v[28:31], a[58:59], v[10:11], v[28:31]// 0000000030BC: D3F3001C 0C72153A
	buffer_load_dwordx4 a[12:15], v109, s[12:15], 0 offen offset:1024// 0000000030C4: E05C1400 80830C6D
	v_mfma_f32_16x16x32_fp8_fp8 v[28:31], a[60:61], v[12:13], v[28:31]// 0000000030CC: D3F3001C 0C72193C
	v_mfma_f32_16x16x32_fp8_fp8 v[28:31], a[62:63], v[14:15], v[28:31]// 0000000030D4: D3F3001C 0C721D3E
	s_waitcnt vmcnt(12)                                        // 0000000030DC: BF8C0F7C
	v_pk_mul_f32 v[16:17], v[64:65], v[16:17]                  // 0000000030E0: D3B14010 18022140
	v_pk_mul_f32 v[18:19], v[64:65], v[18:19]                  // 0000000030E8: D3B14012 18022540
	v_mul_f32_dpp v16, v67, v16 row_newbcast:0 row_mask:0xf bank_mask:0xf// 0000000030F0: 0A2020FA FF015043
	v_mul_f32_dpp v17, v67, v17 row_newbcast:1 row_mask:0xf bank_mask:0xf// 0000000030F8: 0A2222FA FF015143
	v_mul_f32_dpp v18, v67, v18 row_newbcast:2 row_mask:0xf bank_mask:0xf// 000000003100: 0A2424FA FF015243
	v_mul_f32_dpp v19, v67, v19 row_newbcast:3 row_mask:0xf bank_mask:0xf// 000000003108: 0A2626FA FF015343
	v_pk_mul_f32 v[20:21], v[64:65], v[20:21]                  // 000000003110: D3B14014 18022940
	v_pk_mul_f32 v[22:23], v[64:65], v[22:23]                  // 000000003118: D3B14016 18022D40
	v_mul_f32_dpp v20, v67, v20 row_newbcast:4 row_mask:0xf bank_mask:0xf// 000000003120: 0A2828FA FF015443
	v_mul_f32_dpp v21, v67, v21 row_newbcast:5 row_mask:0xf bank_mask:0xf// 000000003128: 0A2A2AFA FF015543
	v_mul_f32_dpp v22, v67, v22 row_newbcast:6 row_mask:0xf bank_mask:0xf// 000000003130: 0A2C2CFA FF015643
	v_mul_f32_dpp v23, v67, v23 row_newbcast:7 row_mask:0xf bank_mask:0xf// 000000003138: 0A2E2EFA FF015743
	v_pk_mul_f32 v[24:25], v[64:65], v[24:25]                  // 000000003140: D3B14018 18023140
	v_pk_mul_f32 v[26:27], v[64:65], v[26:27]                  // 000000003148: D3B1401A 18023540
	v_mul_f32_dpp v24, v67, v24 row_newbcast:8 row_mask:0xf bank_mask:0xf// 000000003150: 0A3030FA FF015843
	v_mul_f32_dpp v25, v67, v25 row_newbcast:9 row_mask:0xf bank_mask:0xf// 000000003158: 0A3232FA FF015943
	v_mul_f32_dpp v26, v67, v26 row_newbcast:10 row_mask:0xf bank_mask:0xf// 000000003160: 0A3434FA FF015A43
	v_mul_f32_dpp v27, v67, v27 row_newbcast:11 row_mask:0xf bank_mask:0xf// 000000003168: 0A3636FA FF015B43
	v_pk_mul_f32 v[28:29], v[64:65], v[28:29]                  // 000000003170: D3B1401C 18023940
	v_pk_mul_f32 v[30:31], v[64:65], v[30:31]                  // 000000003178: D3B1401E 18023D40
	v_mul_f32_dpp v28, v67, v28 row_newbcast:12 row_mask:0xf bank_mask:0xf// 000000003180: 0A3838FA FF015C43
	v_mul_f32_dpp v29, v67, v29 row_newbcast:13 row_mask:0xf bank_mask:0xf// 000000003188: 0A3A3AFA FF015D43
	v_mul_f32_dpp v30, v67, v30 row_newbcast:14 row_mask:0xf bank_mask:0xf// 000000003190: 0A3C3CFA FF015E43
	v_mul_f32_dpp v31, v67, v31 row_newbcast:15 row_mask:0xf bank_mask:0xf// 000000003198: 0A3E3EFA FF015F43
	buffer_load_dwordx4 a[16:19], v108, s[12:15], 0 offen offset:2048// 0000000031A0: E05C1800 8083106C
	v_mov_b32_e32 v92, v16                                     // 0000000031A8: 7EB80310
	v_max3_f32 v92, v16, v17, v92                              // 0000000031AC: D1D3005C 05722310
	v_max3_f32 v92, v18, v19, v92                              // 0000000031B4: D1D3005C 05722712
	v_max3_f32 v92, v20, v21, v92                              // 0000000031BC: D1D3005C 05722B14
	v_max3_f32 v92, v22, v23, v92                              // 0000000031C4: D1D3005C 05722F16
	v_max3_f32 v92, v24, v25, v92                              // 0000000031CC: D1D3005C 05723318
	v_max3_f32 v92, v26, v27, v92                              // 0000000031D4: D1D3005C 0572371A
	v_max3_f32 v92, v28, v29, v92                              // 0000000031DC: D1D3005C 05723B1C
	v_max3_f32 v92, v30, v31, v92                              // 0000000031E4: D1D3005C 05723F1E
	ds_write_b32 v122, v92                                     // 0000000031EC: D81A0000 00005C7A
	v_pk_mul_f32 v[56:57], v[94:95], v[56:57]                  // 0000000031F4: D3B14038 1802715E
	v_pk_mul_f32 v[58:59], v[94:95], v[58:59]                  // 0000000031FC: D3B1403A 1802755E
	v_pk_mul_f32 v[60:61], v[94:95], v[60:61]                  // 000000003204: D3B1403C 1802795E
	v_pk_mul_f32 v[62:63], v[94:95], v[62:63]                  // 00000000320C: D3B1403E 18027D5E
	buffer_load_dwordx4 a[20:23], v109, s[12:15], 0 offen offset:2048// 000000003214: E05C1800 8083146D
	s_waitcnt lgkmcnt(0)                                       // 00000000321C: BF8CC07F
	s_barrier                                                  // 000000003220: BF8A0000
	ds_read_b32 v76, v123                                      // 000000003224: D86C0000 4C00007B
	ds_read_b32 v77, v123 offset:64                            // 00000000322C: D86C0040 4D00007B
	ds_read_b32 v78, v123 offset:128                           // 000000003234: D86C0080 4E00007B
	ds_read_b32 v79, v123 offset:192                           // 00000000323C: D86C00C0 4F00007B
	ds_read_b32 v80, v123 offset:256                           // 000000003244: D86C0100 5000007B
	ds_read_b32 v81, v123 offset:320                           // 00000000324C: D86C0140 5100007B
	ds_read_b32 v82, v123 offset:384                           // 000000003254: D86C0180 5200007B
	ds_read_b32 v83, v123 offset:448                           // 00000000325C: D86C01C0 5300007B
	ds_read_b32 v84, v123 offset:512                           // 000000003264: D86C0200 5400007B
	ds_read_b32 v85, v123 offset:576                           // 00000000326C: D86C0240 5500007B
	ds_read_b32 v86, v123 offset:640                           // 000000003274: D86C0280 5600007B
	ds_read_b32 v87, v123 offset:704                           // 00000000327C: D86C02C0 5700007B
	ds_read_b32 v88, v123 offset:768                           // 000000003284: D86C0300 5800007B
	ds_read_b32 v89, v123 offset:832                           // 00000000328C: D86C0340 5900007B
	ds_read_b32 v90, v123 offset:896                           // 000000003294: D86C0380 5A00007B
	ds_read_b32 v91, v123 offset:960                           // 00000000329C: D86C03C0 5B00007B
	buffer_load_dwordx4 a[28:31], v109, s[12:15], 0 offen offset:3072// 0000000032A4: E05C1C00 80831C6D
	v_pk_mul_f32 v[48:49], v[70:71], v[48:49]                  // 0000000032AC: D3B14030 18026146
	v_pk_mul_f32 v[50:51], v[70:71], v[50:51]                  // 0000000032B4: D3B14032 18026546
	v_pk_mul_f32 v[52:53], v[70:71], v[52:53]                  // 0000000032BC: D3B14034 18026946
	v_pk_mul_f32 v[54:55], v[70:71], v[54:55]                  // 0000000032C4: D3B14036 18026D46
	buffer_load_dwordx4 a[24:27], v108, s[12:15], 0 offen offset:3072// 0000000032CC: E05C1C00 8083186C
	s_waitcnt lgkmcnt(0)                                       // 0000000032D4: BF8CC07F
	v_max3_f32 v92, v76, v77, v92                              // 0000000032D8: D1D3005C 05729B4C
	v_max3_f32 v92, v78, v79, v92                              // 0000000032E0: D1D3005C 05729F4E
	v_max3_f32 v92, v80, v81, v92                              // 0000000032E8: D1D3005C 0572A350
	v_max3_f32 v92, v82, v83, v92                              // 0000000032F0: D1D3005C 0572A752
	v_max3_f32 v92, v84, v85, v92                              // 0000000032F8: D1D3005C 0572AB54
	v_max3_f32 v92, v86, v87, v92                              // 000000003300: D1D3005C 0572AF56
	v_max3_f32 v92, v88, v89, v92                              // 000000003308: D1D3005C 0572B358
	v_max3_f32 v92, v90, v91, v92                              // 000000003310: D1D3005C 0572B75A
	v_max_f32_e32 v97, v92, v96                                // 000000003318: 16C2C15C
	v_mul_f32_e64 v72, -s51, v97                               // 00000000331C: D1050048 2002C233
	v_mov_b32_e32 v73, v72                                     // 000000003324: 7E920348
	v_pk_fma_f32 v[16:17], v[16:17], s[86:87], v[72:73]        // 000000003328: D3B04010 1D20AD10
	v_pk_fma_f32 v[18:19], v[18:19], s[86:87], v[72:73]        // 000000003330: D3B04012 1D20AD12
	v_exp_f32_e32 v16, v16                                     // 000000003338: 7E204110
	v_exp_f32_e32 v17, v17                                     // 00000000333C: 7E224111
	v_exp_f32_e32 v18, v18                                     // 000000003340: 7E244112
	v_exp_f32_e32 v19, v19                                     // 000000003344: 7E264113
	v_pk_fma_f32 v[20:21], v[20:21], s[86:87], v[72:73]        // 000000003348: D3B04014 1D20AD14
	v_pk_fma_f32 v[22:23], v[22:23], s[86:87], v[72:73]        // 000000003350: D3B04016 1D20AD16
	v_exp_f32_e32 v20, v20                                     // 000000003358: 7E284114
	v_exp_f32_e32 v21, v21                                     // 00000000335C: 7E2A4115
	v_exp_f32_e32 v22, v22                                     // 000000003360: 7E2C4116
	v_exp_f32_e32 v23, v23                                     // 000000003364: 7E2E4117
	v_pk_fma_f32 v[24:25], v[24:25], s[86:87], v[72:73]        // 000000003368: D3B04018 1D20AD18
	v_pk_fma_f32 v[26:27], v[26:27], s[86:87], v[72:73]        // 000000003370: D3B0401A 1D20AD1A
	v_exp_f32_e32 v24, v24                                     // 000000003378: 7E304118
	v_exp_f32_e32 v25, v25                                     // 00000000337C: 7E324119
	v_exp_f32_e32 v26, v26                                     // 000000003380: 7E34411A
	v_exp_f32_e32 v27, v27                                     // 000000003384: 7E36411B
	v_pk_fma_f32 v[28:29], v[28:29], s[86:87], v[72:73]        // 000000003388: D3B0401C 1D20AD1C
	v_pk_fma_f32 v[30:31], v[30:31], s[86:87], v[72:73]        // 000000003390: D3B0401E 1D20AD1E
	v_exp_f32_e32 v28, v28                                     // 000000003398: 7E38411C
	v_exp_f32_e32 v29, v29                                     // 00000000339C: 7E3A411D
	v_exp_f32_e32 v30, v30                                     // 0000000033A0: 7E3C411E
	v_exp_f32_e32 v31, v31                                     // 0000000033A4: 7E3E411F
	v_mul_f32_dpp v32, v69, v16 row_newbcast:0 row_mask:0xf bank_mask:0xf// 0000000033A8: 0A4020FA FF015045
	v_mul_f32_dpp v33, v69, v17 row_newbcast:1 row_mask:0xf bank_mask:0xf// 0000000033B0: 0A4222FA FF015145
	v_mul_f32_dpp v34, v69, v18 row_newbcast:2 row_mask:0xf bank_mask:0xf// 0000000033B8: 0A4424FA FF015245
	v_mul_f32_dpp v35, v69, v19 row_newbcast:3 row_mask:0xf bank_mask:0xf// 0000000033C0: 0A4626FA FF015345
	v_mul_f32_dpp v36, v69, v20 row_newbcast:4 row_mask:0xf bank_mask:0xf// 0000000033C8: 0A4828FA FF015445
	v_mul_f32_dpp v37, v69, v21 row_newbcast:5 row_mask:0xf bank_mask:0xf// 0000000033D0: 0A4A2AFA FF015545
	v_mul_f32_dpp v38, v69, v22 row_newbcast:6 row_mask:0xf bank_mask:0xf// 0000000033D8: 0A4C2CFA FF015645
	v_mul_f32_dpp v39, v69, v23 row_newbcast:7 row_mask:0xf bank_mask:0xf// 0000000033E0: 0A4E2EFA FF015745
	v_mul_f32_dpp v40, v69, v24 row_newbcast:8 row_mask:0xf bank_mask:0xf// 0000000033E8: 0A5030FA FF015845
	v_mul_f32_dpp v41, v69, v25 row_newbcast:9 row_mask:0xf bank_mask:0xf// 0000000033F0: 0A5232FA FF015945
	v_mul_f32_dpp v42, v69, v26 row_newbcast:10 row_mask:0xf bank_mask:0xf// 0000000033F8: 0A5434FA FF015A45
	v_mul_f32_dpp v43, v69, v27 row_newbcast:11 row_mask:0xf bank_mask:0xf// 000000003400: 0A5636FA FF015B45
	v_mul_f32_dpp v44, v69, v28 row_newbcast:12 row_mask:0xf bank_mask:0xf// 000000003408: 0A5838FA FF015C45
	v_mul_f32_dpp v45, v69, v29 row_newbcast:13 row_mask:0xf bank_mask:0xf// 000000003410: 0A5A3AFA FF015D45
	v_mul_f32_dpp v46, v69, v30 row_newbcast:14 row_mask:0xf bank_mask:0xf// 000000003418: 0A5C3CFA FF015E45
	v_mul_f32_dpp v47, v69, v31 row_newbcast:15 row_mask:0xf bank_mask:0xf// 000000003420: 0A5E3EFA FF015F45
	v_mov_b32_e32 v92, 0x358637bd                              // 000000003428: 7EB802FF 358637BD
	v_max3_f32 v92, |v32|, |v33|, v92                          // 000000003430: D1D3035C 05724320
	v_max3_f32 v92, |v34|, |v35|, v92                          // 000000003438: D1D3035C 05724722
	v_max3_f32 v92, |v36|, |v37|, v92                          // 000000003440: D1D3035C 05724B24
	v_max3_f32 v92, |v38|, |v39|, v92                          // 000000003448: D1D3035C 05724F26
	v_max3_f32 v92, |v40|, |v41|, v92                          // 000000003450: D1D3035C 05725328
	v_max3_f32 v92, |v42|, |v43|, v92                          // 000000003458: D1D3035C 0572572A
	v_max3_f32 v92, |v44|, |v45|, v92                          // 000000003460: D1D3035C 05725B2C
	v_max3_f32 v92, |v46|, |v47|, v92                          // 000000003468: D1D3035C 05725F2E
	ds_write_b32 v122, v92 offset:1280                         // 000000003470: D81A0500 00005C7A
	buffer_load_dword v66, v114, s[28:31], 0 offen             // 000000003478: E0501000 80074272
	v_sub_f32_e32 v94, v96, v97                                // 000000003480: 04BCC360
	v_cmp_eq_u32_e64 s[84:85], v105, v96                       // 000000003484: D0CA0054 0002C169
	s_nop 0                                                    // 00000000348C: BF800000
	v_cndmask_b32_e64 v94, v94, 0, s[84:85]                    // 000000003490: D100005E 0151015E
	v_mov_b32_e32 v96, v97                                     // 000000003498: 7EC00361
	v_mul_f32_e32 v94, s51, v94                                // 00000000349C: 0ABCBC33
	v_exp_f32_e32 v94, v94                                     // 0000000034A0: 7EBC415E
	s_nop 0                                                    // 0000000034A4: BF800000
	v_mov_b32_e32 v95, v94                                     // 0000000034A8: 7EBE035E
	buffer_load_dword v68, v115, s[32:35], 0 offen             // 0000000034AC: E0501000 80084473
	s_waitcnt lgkmcnt(0)                                       // 0000000034B4: BF8CC07F
	s_barrier                                                  // 0000000034B8: BF8A0000
	ds_read_b32 v76, v123 offset:1280                          // 0000000034BC: D86C0500 4C00007B
	ds_read_b32 v77, v123 offset:1344                          // 0000000034C4: D86C0540 4D00007B
	ds_read_b32 v78, v123 offset:1408                          // 0000000034CC: D86C0580 4E00007B
	ds_read_b32 v79, v123 offset:1472                          // 0000000034D4: D86C05C0 4F00007B
	ds_read_b32 v80, v123 offset:1536                          // 0000000034DC: D86C0600 5000007B
	ds_read_b32 v81, v123 offset:1600                          // 0000000034E4: D86C0640 5100007B
	ds_read_b32 v82, v123 offset:1664                          // 0000000034EC: D86C0680 5200007B
	ds_read_b32 v83, v123 offset:1728                          // 0000000034F4: D86C06C0 5300007B
	ds_read_b32 v84, v123 offset:1792                          // 0000000034FC: D86C0700 5400007B
	ds_read_b32 v85, v123 offset:1856                          // 000000003504: D86C0740 5500007B
	ds_read_b32 v86, v123 offset:1920                          // 00000000350C: D86C0780 5600007B
	ds_read_b32 v87, v123 offset:1984                          // 000000003514: D86C07C0 5700007B
	ds_read_b32 v88, v123 offset:2048                          // 00000000351C: D86C0800 5800007B
	ds_read_b32 v89, v123 offset:2112                          // 000000003524: D86C0840 5900007B
	ds_read_b32 v90, v123 offset:2176                          // 00000000352C: D86C0880 5A00007B
	ds_read_b32 v91, v123 offset:2240                          // 000000003534: D86C08C0 5B00007B
	buffer_load_dwordx4 a[64:67], v110, s[16:19], 0 offen      // 00000000353C: E05C1000 8084406E
	v_mul_f32_e32 v98, v94, v98                                // 000000003544: 0AC4C55E
	v_add_f32_e32 v98, v16, v98                                // 000000003548: 02C4C510
	v_add_f32_e32 v98, v17, v98                                // 00000000354C: 02C4C511
	v_add_f32_e32 v98, v18, v98                                // 000000003550: 02C4C512
	v_add_f32_e32 v98, v19, v98                                // 000000003554: 02C4C513
	v_add_f32_e32 v98, v20, v98                                // 000000003558: 02C4C514
	v_add_f32_e32 v98, v21, v98                                // 00000000355C: 02C4C515
	v_add_f32_e32 v98, v22, v98                                // 000000003560: 02C4C516
	v_add_f32_e32 v98, v23, v98                                // 000000003564: 02C4C517
	v_add_f32_e32 v98, v24, v98                                // 000000003568: 02C4C518
	v_add_f32_e32 v98, v25, v98                                // 00000000356C: 02C4C519
	v_add_f32_e32 v98, v26, v98                                // 000000003570: 02C4C51A
	v_add_f32_e32 v98, v27, v98                                // 000000003574: 02C4C51B
	v_add_f32_e32 v98, v28, v98                                // 000000003578: 02C4C51C
	v_add_f32_e32 v98, v29, v98                                // 00000000357C: 02C4C51D
	v_add_f32_e32 v98, v30, v98                                // 000000003580: 02C4C51E
	v_add_f32_e32 v98, v31, v98                                // 000000003584: 02C4C51F
	buffer_load_dwordx4 a[68:71], v111, s[16:19], 0 offen      // 000000003588: E05C1000 8084446F
	s_waitcnt lgkmcnt(0)                                       // 000000003590: BF8CC07F
	v_max3_f32 v92, v76, v77, v92                              // 000000003594: D1D3005C 05729B4C
	v_max3_f32 v92, v78, v79, v92                              // 00000000359C: D1D3005C 05729F4E
	v_max3_f32 v92, v80, v81, v92                              // 0000000035A4: D1D3005C 0572A350
	v_max3_f32 v92, v82, v83, v92                              // 0000000035AC: D1D3005C 0572A752
	v_max3_f32 v92, v84, v85, v92                              // 0000000035B4: D1D3005C 0572AB54
	v_max3_f32 v92, v86, v87, v92                              // 0000000035BC: D1D3005C 0572AF56
	v_max3_f32 v92, v88, v89, v92                              // 0000000035C4: D1D3005C 0572B358
	v_max3_f32 v92, v90, v91, v92                              // 0000000035CC: D1D3005C 0572B75A
	v_rcp_f32_e32 v92, v92                                     // 0000000035D4: 7EB8455C
	s_nop 0                                                    // 0000000035D8: BF800000
	v_mul_f32_e32 v92, 0x43700000, v92                         // 0000000035DC: 0AB8B8FF 43700000
	v_mov_b32_e32 v93, v92                                     // 0000000035E4: 7EBA035C
	v_pk_mul_f32 v[16:17], v[92:93], v[32:33]                  // 0000000035E8: D3B14010 1802415C
	v_pk_mul_f32 v[18:19], v[92:93], v[34:35]                  // 0000000035F0: D3B14012 1802455C
	v_pk_mul_f32 v[20:21], v[92:93], v[36:37]                  // 0000000035F8: D3B14014 1802495C
	v_pk_mul_f32 v[22:23], v[92:93], v[38:39]                  // 000000003600: D3B14016 18024D5C
	v_pk_mul_f32 v[24:25], v[92:93], v[40:41]                  // 000000003608: D3B14018 1802515C
	v_pk_mul_f32 v[26:27], v[92:93], v[42:43]                  // 000000003610: D3B1401A 1802555C
	v_pk_mul_f32 v[28:29], v[92:93], v[44:45]                  // 000000003618: D3B1401C 1802595C
	v_pk_mul_f32 v[30:31], v[92:93], v[46:47]                  // 000000003620: D3B1401E 18025D5C
	v_cvt_pk_fp8_f32 v16, v16, v17                             // 000000003628: D2A20010 00022310
	v_cvt_pk_fp8_f32 v16, v18, v19 op_sel:[0,0,1]              // 000000003630: D2A24010 00022712
	v_cvt_pk_fp8_f32 v17, v20, v21                             // 000000003638: D2A20011 00022B14
	v_cvt_pk_fp8_f32 v17, v22, v23 op_sel:[0,0,1]              // 000000003640: D2A24011 00022F16
	v_cvt_pk_fp8_f32 v18, v24, v25                             // 000000003648: D2A20012 00023318
	v_cvt_pk_fp8_f32 v18, v26, v27 op_sel:[0,0,1]              // 000000003650: D2A24012 0002371A
	v_cvt_pk_fp8_f32 v19, v28, v29                             // 000000003658: D2A20013 00023B1C
	v_cvt_pk_fp8_f32 v19, v30, v31 op_sel:[0,0,1]              // 000000003660: D2A24013 00023F1E
	ds_write_b32 v124, v16 offset:2560                         // 000000003668: D81A0A00 0000107C
	ds_write_b32 v124, v17 offset:3584                         // 000000003670: D81A0E00 0000117C
	ds_write_b32 v124, v18 offset:4608                         // 000000003678: D81A1200 0000127C
	ds_write_b32 v124, v19 offset:5632                         // 000000003680: D81A1600 0000137C
	v_rcp_f32_e32 v70, v92                                     // 000000003688: 7E8C455C
	s_nop 0                                                    // 00000000368C: BF800000
	v_mov_b32_e32 v71, v70                                     // 000000003690: 7E8E0346
	buffer_load_dwordx4 a[72:75], v112, s[16:19], 0 offen      // 000000003694: E05C1000 80844870
	v_pk_add_f32 v[56:57], v[56:57], v[48:49]                  // 00000000369C: D3B24038 18026138
	v_pk_add_f32 v[58:59], v[58:59], v[50:51]                  // 0000000036A4: D3B2403A 1802653A
	v_pk_add_f32 v[60:61], v[60:61], v[52:53]                  // 0000000036AC: D3B2403C 1802693C
	v_pk_add_f32 v[62:63], v[62:63], v[54:55]                  // 0000000036B4: D3B2403E 18026D3E
	s_waitcnt lgkmcnt(0)                                       // 0000000036BC: BF8CC07F
	s_barrier                                                  // 0000000036C0: BF8A0000
	ds_read_b128 v[16:19], v125 offset:2560                    // 0000000036C4: D9FE0A00 1000007D
	ds_read_b128 v[20:23], v125 offset:3584                    // 0000000036CC: D9FE0E00 1400007D
	ds_read_b128 v[24:27], v125 offset:4608                    // 0000000036D4: D9FE1200 1800007D
	ds_read_b128 v[28:31], v125 offset:5632                    // 0000000036DC: D9FE1600 1C00007D
	buffer_load_dwordx4 a[76:79], v113, s[16:19], 0 offen      // 0000000036E4: E05C1000 80844C71
	s_waitcnt vmcnt(14)                                        // 0000000036EC: BF8C0F7E
	s_waitcnt lgkmcnt(3)                                       // 0000000036F0: BF8CC37F
	v_mfma_f32_16x16x32_fp8_fp8 v[48:51], a[96:97], v[16:17], 0// 0000000036F4: D3F30030 0A022160
	v_mfma_f32_16x16x32_fp8_fp8 v[52:55], a[112:113], v[16:17], 0// 0000000036FC: D3F30034 0A022170
	v_mfma_f32_16x16x32_fp8_fp8 v[48:51], a[98:99], v[18:19], v[48:51]// 000000003704: D3F30030 0CC22562
	v_mfma_f32_16x16x32_fp8_fp8 v[52:55], a[114:115], v[18:19], v[52:55]// 00000000370C: D3F30034 0CD22572
	buffer_load_dwordx4 a[80:83], v110, s[16:19], 0 offen offset:1024// 000000003714: E05C1400 8084506E
	s_waitcnt lgkmcnt(2)                                       // 00000000371C: BF8CC27F
	v_mfma_f32_16x16x32_fp8_fp8 v[48:51], a[100:101], v[20:21], v[48:51]// 000000003720: D3F30030 0CC22964
	v_mfma_f32_16x16x32_fp8_fp8 v[52:55], a[116:117], v[20:21], v[52:55]// 000000003728: D3F30034 0CD22974
	v_mfma_f32_16x16x32_fp8_fp8 v[48:51], a[102:103], v[22:23], v[48:51]// 000000003730: D3F30030 0CC22D66
	v_mfma_f32_16x16x32_fp8_fp8 v[52:55], a[118:119], v[22:23], v[52:55]// 000000003738: D3F30034 0CD22D76
	buffer_load_dwordx4 a[84:87], v111, s[16:19], 0 offen offset:1024// 000000003740: E05C1400 8084546F
	s_waitcnt lgkmcnt(1)                                       // 000000003748: BF8CC17F
	v_mfma_f32_16x16x32_fp8_fp8 v[48:51], a[104:105], v[24:25], v[48:51]// 00000000374C: D3F30030 0CC23168
	v_mfma_f32_16x16x32_fp8_fp8 v[52:55], a[120:121], v[24:25], v[52:55]// 000000003754: D3F30034 0CD23178
	v_mfma_f32_16x16x32_fp8_fp8 v[48:51], a[106:107], v[26:27], v[48:51]// 00000000375C: D3F30030 0CC2356A
	v_mfma_f32_16x16x32_fp8_fp8 v[52:55], a[122:123], v[26:27], v[52:55]// 000000003764: D3F30034 0CD2357A
	buffer_load_dwordx4 a[88:91], v112, s[16:19], 0 offen offset:1024// 00000000376C: E05C1400 80845870
	s_waitcnt lgkmcnt(0)                                       // 000000003774: BF8CC07F
	v_mfma_f32_16x16x32_fp8_fp8 v[48:51], a[108:109], v[28:29], v[48:51]// 000000003778: D3F30030 0CC2396C
	v_mfma_f32_16x16x32_fp8_fp8 v[52:55], a[124:125], v[28:29], v[52:55]// 000000003780: D3F30034 0CD2397C
	v_mfma_f32_16x16x32_fp8_fp8 v[48:51], a[110:111], v[30:31], v[48:51]// 000000003788: D3F30030 0CC23D6E
	v_mfma_f32_16x16x32_fp8_fp8 v[52:55], a[126:127], v[30:31], v[52:55]// 000000003790: D3F30034 0CD23D7E
	buffer_load_dwordx4 a[92:95], v113, s[16:19], 0 offen offset:1024// 000000003798: E05C1400 80845C71
	s_addk_i32 s49, 0x100                                      // 0000000037A0: B7310100
	s_cmp_lt_i32 s49, s50                                      // 0000000037A4: BF043231
	s_cbranch_scc0 label_112E                                  // 0000000037A8: BF840B83
	s_waitcnt vmcnt(10)                                        // 0000000037AC: BF8C0F7A
	v_mfma_f32_16x16x32_fp8_fp8 v[16:19], a[0:1], v[8:9], 0    // 0000000037B0: D3F30010 0A021100
	s_add_u32 s12, s76, s63                                    // 0000000037B8: 800C3F4C
	s_addc_u32 s13, s77, 0                                     // 0000000037BC: 820D804D
	v_mfma_f32_16x16x32_fp8_fp8 v[16:19], a[2:3], v[10:11], v[16:19]// 0000000037C0: D3F30010 0C421502
	buffer_load_dwordx4 a[32:35], v108, s[12:15], 0 offen      // 0000000037C8: E05C1000 8083206C
	v_mfma_f32_16x16x32_fp8_fp8 v[16:19], a[4:5], v[12:13], v[16:19]// 0000000037D0: D3F30010 0C421904
	s_add_u32 s16, s78, s64                                    // 0000000037D8: 8010404E
	s_addc_u32 s17, s79, 0                                     // 0000000037DC: 8211804F
	v_mfma_f32_16x16x32_fp8_fp8 v[16:19], a[6:7], v[14:15], v[16:19]// 0000000037E0: D3F30010 0C421D06
	s_add_u32 s28, s80, s65                                    // 0000000037E8: 801C4150
	s_addc_u32 s29, s81, 0                                     // 0000000037EC: 821D8051
	v_mfma_f32_16x16x32_fp8_fp8 v[20:23], a[8:9], v[8:9], 0    // 0000000037F0: D3F30014 0A021108
	s_add_u32 s32, s82, s65                                    // 0000000037F8: 80204152
	s_addc_u32 s33, s83, 0                                     // 0000000037FC: 82218053
	v_mfma_f32_16x16x32_fp8_fp8 v[20:23], a[10:11], v[10:11], v[20:23]// 000000003800: D3F30014 0C52150A
	buffer_load_dwordx4 a[36:39], v109, s[12:15], 0 offen      // 000000003808: E05C1000 8083246D
	v_mfma_f32_16x16x32_fp8_fp8 v[20:23], a[12:13], v[12:13], v[20:23]// 000000003810: D3F30014 0C52190C
	s_mul_i32 s63, s60, s56                                    // 000000003818: 923F383C
	s_mov_b32 s64, s63                                         // 00000000381C: BEC0003F
	v_mfma_f32_16x16x32_fp8_fp8 v[20:23], a[14:15], v[14:15], v[20:23]// 000000003820: D3F30014 0C521D0E
	s_mul_i32 s65, s60, s58                                    // 000000003828: 92413A3C
	v_mfma_f32_16x16x32_fp8_fp8 v[24:27], a[16:17], v[8:9], 0  // 00000000382C: D3F30018 0A021110
	v_mfma_f32_16x16x32_fp8_fp8 v[24:27], a[18:19], v[10:11], v[24:27]// 000000003834: D3F30018 0C621512
	buffer_load_dwordx4 a[40:43], v108, s[12:15], 0 offen offset:1024// 00000000383C: E05C1400 8083286C
	v_mfma_f32_16x16x32_fp8_fp8 v[24:27], a[20:21], v[12:13], v[24:27]// 000000003844: D3F30018 0C621914
	v_mfma_f32_16x16x32_fp8_fp8 v[24:27], a[22:23], v[14:15], v[24:27]// 00000000384C: D3F30018 0C621D16
	v_mfma_f32_16x16x32_fp8_fp8 v[28:31], a[24:25], v[8:9], 0  // 000000003854: D3F3001C 0A021118
	v_mfma_f32_16x16x32_fp8_fp8 v[28:31], a[26:27], v[10:11], v[28:31]// 00000000385C: D3F3001C 0C72151A
	buffer_load_dwordx4 a[44:47], v109, s[12:15], 0 offen offset:1024// 000000003864: E05C1400 80832C6D
	v_mfma_f32_16x16x32_fp8_fp8 v[28:31], a[28:29], v[12:13], v[28:31]// 00000000386C: D3F3001C 0C72191C
	v_mfma_f32_16x16x32_fp8_fp8 v[28:31], a[30:31], v[14:15], v[28:31]// 000000003874: D3F3001C 0C721D1E
	s_waitcnt vmcnt(12)                                        // 00000000387C: BF8C0F7C
	v_pk_mul_f32 v[16:17], v[64:65], v[16:17]                  // 000000003880: D3B14010 18022140
	v_pk_mul_f32 v[18:19], v[64:65], v[18:19]                  // 000000003888: D3B14012 18022540
	v_mul_f32_dpp v16, v66, v16 row_newbcast:0 row_mask:0xf bank_mask:0xf// 000000003890: 0A2020FA FF015042
	v_mul_f32_dpp v17, v66, v17 row_newbcast:1 row_mask:0xf bank_mask:0xf// 000000003898: 0A2222FA FF015142
	v_mul_f32_dpp v18, v66, v18 row_newbcast:2 row_mask:0xf bank_mask:0xf// 0000000038A0: 0A2424FA FF015242
	v_mul_f32_dpp v19, v66, v19 row_newbcast:3 row_mask:0xf bank_mask:0xf// 0000000038A8: 0A2626FA FF015342
	v_pk_mul_f32 v[20:21], v[64:65], v[20:21]                  // 0000000038B0: D3B14014 18022940
	v_pk_mul_f32 v[22:23], v[64:65], v[22:23]                  // 0000000038B8: D3B14016 18022D40
	v_mul_f32_dpp v20, v66, v20 row_newbcast:4 row_mask:0xf bank_mask:0xf// 0000000038C0: 0A2828FA FF015442
	v_mul_f32_dpp v21, v66, v21 row_newbcast:5 row_mask:0xf bank_mask:0xf// 0000000038C8: 0A2A2AFA FF015542
	v_mul_f32_dpp v22, v66, v22 row_newbcast:6 row_mask:0xf bank_mask:0xf// 0000000038D0: 0A2C2CFA FF015642
	v_mul_f32_dpp v23, v66, v23 row_newbcast:7 row_mask:0xf bank_mask:0xf// 0000000038D8: 0A2E2EFA FF015742
	v_pk_mul_f32 v[24:25], v[64:65], v[24:25]                  // 0000000038E0: D3B14018 18023140
	v_pk_mul_f32 v[26:27], v[64:65], v[26:27]                  // 0000000038E8: D3B1401A 18023540
	v_mul_f32_dpp v24, v66, v24 row_newbcast:8 row_mask:0xf bank_mask:0xf// 0000000038F0: 0A3030FA FF015842
	v_mul_f32_dpp v25, v66, v25 row_newbcast:9 row_mask:0xf bank_mask:0xf// 0000000038F8: 0A3232FA FF015942
	v_mul_f32_dpp v26, v66, v26 row_newbcast:10 row_mask:0xf bank_mask:0xf// 000000003900: 0A3434FA FF015A42
	v_mul_f32_dpp v27, v66, v27 row_newbcast:11 row_mask:0xf bank_mask:0xf// 000000003908: 0A3636FA FF015B42
	v_pk_mul_f32 v[28:29], v[64:65], v[28:29]                  // 000000003910: D3B1401C 18023940
	v_pk_mul_f32 v[30:31], v[64:65], v[30:31]                  // 000000003918: D3B1401E 18023D40
	v_mul_f32_dpp v28, v66, v28 row_newbcast:12 row_mask:0xf bank_mask:0xf// 000000003920: 0A3838FA FF015C42
	v_mul_f32_dpp v29, v66, v29 row_newbcast:13 row_mask:0xf bank_mask:0xf// 000000003928: 0A3A3AFA FF015D42
	v_mul_f32_dpp v30, v66, v30 row_newbcast:14 row_mask:0xf bank_mask:0xf// 000000003930: 0A3C3CFA FF015E42
	v_mul_f32_dpp v31, v66, v31 row_newbcast:15 row_mask:0xf bank_mask:0xf// 000000003938: 0A3E3EFA FF015F42
	buffer_load_dwordx4 a[48:51], v108, s[12:15], 0 offen offset:2048// 000000003940: E05C1800 8083306C
	v_mov_b32_e32 v92, v16                                     // 000000003948: 7EB80310
	v_max3_f32 v92, v16, v17, v92                              // 00000000394C: D1D3005C 05722310
	v_max3_f32 v92, v18, v19, v92                              // 000000003954: D1D3005C 05722712
	v_max3_f32 v92, v20, v21, v92                              // 00000000395C: D1D3005C 05722B14
	v_max3_f32 v92, v22, v23, v92                              // 000000003964: D1D3005C 05722F16
	v_max3_f32 v92, v24, v25, v92                              // 00000000396C: D1D3005C 05723318
	v_max3_f32 v92, v26, v27, v92                              // 000000003974: D1D3005C 0572371A
	v_max3_f32 v92, v28, v29, v92                              // 00000000397C: D1D3005C 05723B1C
	v_max3_f32 v92, v30, v31, v92                              // 000000003984: D1D3005C 05723F1E
	ds_write_b32 v122, v92                                     // 00000000398C: D81A0000 00005C7A
	v_pk_mul_f32 v[56:57], v[94:95], v[56:57]                  // 000000003994: D3B14038 1802715E
	v_pk_mul_f32 v[58:59], v[94:95], v[58:59]                  // 00000000399C: D3B1403A 1802755E
	v_pk_mul_f32 v[60:61], v[94:95], v[60:61]                  // 0000000039A4: D3B1403C 1802795E
	v_pk_mul_f32 v[62:63], v[94:95], v[62:63]                  // 0000000039AC: D3B1403E 18027D5E
	buffer_load_dwordx4 a[52:55], v109, s[12:15], 0 offen offset:2048// 0000000039B4: E05C1800 8083346D
	s_waitcnt lgkmcnt(0)                                       // 0000000039BC: BF8CC07F
	s_barrier                                                  // 0000000039C0: BF8A0000
	ds_read_b32 v76, v123                                      // 0000000039C4: D86C0000 4C00007B
	ds_read_b32 v77, v123 offset:64                            // 0000000039CC: D86C0040 4D00007B
	ds_read_b32 v78, v123 offset:128                           // 0000000039D4: D86C0080 4E00007B
	ds_read_b32 v79, v123 offset:192                           // 0000000039DC: D86C00C0 4F00007B
	ds_read_b32 v80, v123 offset:256                           // 0000000039E4: D86C0100 5000007B
	ds_read_b32 v81, v123 offset:320                           // 0000000039EC: D86C0140 5100007B
	ds_read_b32 v82, v123 offset:384                           // 0000000039F4: D86C0180 5200007B
	ds_read_b32 v83, v123 offset:448                           // 0000000039FC: D86C01C0 5300007B
	ds_read_b32 v84, v123 offset:512                           // 000000003A04: D86C0200 5400007B
	ds_read_b32 v85, v123 offset:576                           // 000000003A0C: D86C0240 5500007B
	ds_read_b32 v86, v123 offset:640                           // 000000003A14: D86C0280 5600007B
	ds_read_b32 v87, v123 offset:704                           // 000000003A1C: D86C02C0 5700007B
	ds_read_b32 v88, v123 offset:768                           // 000000003A24: D86C0300 5800007B
	ds_read_b32 v89, v123 offset:832                           // 000000003A2C: D86C0340 5900007B
	ds_read_b32 v90, v123 offset:896                           // 000000003A34: D86C0380 5A00007B
	ds_read_b32 v91, v123 offset:960                           // 000000003A3C: D86C03C0 5B00007B
	buffer_load_dwordx4 a[60:63], v109, s[12:15], 0 offen offset:3072// 000000003A44: E05C1C00 80833C6D
	v_pk_mul_f32 v[48:49], v[70:71], v[48:49]                  // 000000003A4C: D3B14030 18026146
	v_pk_mul_f32 v[50:51], v[70:71], v[50:51]                  // 000000003A54: D3B14032 18026546
	v_pk_mul_f32 v[52:53], v[70:71], v[52:53]                  // 000000003A5C: D3B14034 18026946
	v_pk_mul_f32 v[54:55], v[70:71], v[54:55]                  // 000000003A64: D3B14036 18026D46
	buffer_load_dwordx4 a[56:59], v108, s[12:15], 0 offen offset:3072// 000000003A6C: E05C1C00 8083386C
	s_waitcnt lgkmcnt(0)                                       // 000000003A74: BF8CC07F
	v_max3_f32 v92, v76, v77, v92                              // 000000003A78: D1D3005C 05729B4C
	v_max3_f32 v92, v78, v79, v92                              // 000000003A80: D1D3005C 05729F4E
	v_max3_f32 v92, v80, v81, v92                              // 000000003A88: D1D3005C 0572A350
	v_max3_f32 v92, v82, v83, v92                              // 000000003A90: D1D3005C 0572A752
	v_max3_f32 v92, v84, v85, v92                              // 000000003A98: D1D3005C 0572AB54
	v_max3_f32 v92, v86, v87, v92                              // 000000003AA0: D1D3005C 0572AF56
	v_max3_f32 v92, v88, v89, v92                              // 000000003AA8: D1D3005C 0572B358
	v_max3_f32 v92, v90, v91, v92                              // 000000003AB0: D1D3005C 0572B75A
	v_max_f32_e32 v97, v92, v96                                // 000000003AB8: 16C2C15C
	v_mul_f32_e64 v72, -s51, v97                               // 000000003ABC: D1050048 2002C233
	v_mov_b32_e32 v73, v72                                     // 000000003AC4: 7E920348
	v_pk_fma_f32 v[16:17], v[16:17], s[86:87], v[72:73]        // 000000003AC8: D3B04010 1D20AD10
	v_pk_fma_f32 v[18:19], v[18:19], s[86:87], v[72:73]        // 000000003AD0: D3B04012 1D20AD12
	v_exp_f32_e32 v16, v16                                     // 000000003AD8: 7E204110
	v_exp_f32_e32 v17, v17                                     // 000000003ADC: 7E224111
	v_exp_f32_e32 v18, v18                                     // 000000003AE0: 7E244112
	v_exp_f32_e32 v19, v19                                     // 000000003AE4: 7E264113
	v_pk_fma_f32 v[20:21], v[20:21], s[86:87], v[72:73]        // 000000003AE8: D3B04014 1D20AD14
	v_pk_fma_f32 v[22:23], v[22:23], s[86:87], v[72:73]        // 000000003AF0: D3B04016 1D20AD16
	v_exp_f32_e32 v20, v20                                     // 000000003AF8: 7E284114
	v_exp_f32_e32 v21, v21                                     // 000000003AFC: 7E2A4115
	v_exp_f32_e32 v22, v22                                     // 000000003B00: 7E2C4116
	v_exp_f32_e32 v23, v23                                     // 000000003B04: 7E2E4117
	v_pk_fma_f32 v[24:25], v[24:25], s[86:87], v[72:73]        // 000000003B08: D3B04018 1D20AD18
	v_pk_fma_f32 v[26:27], v[26:27], s[86:87], v[72:73]        // 000000003B10: D3B0401A 1D20AD1A
	v_exp_f32_e32 v24, v24                                     // 000000003B18: 7E304118
	v_exp_f32_e32 v25, v25                                     // 000000003B1C: 7E324119
	v_exp_f32_e32 v26, v26                                     // 000000003B20: 7E34411A
	v_exp_f32_e32 v27, v27                                     // 000000003B24: 7E36411B
	v_pk_fma_f32 v[28:29], v[28:29], s[86:87], v[72:73]        // 000000003B28: D3B0401C 1D20AD1C
	v_pk_fma_f32 v[30:31], v[30:31], s[86:87], v[72:73]        // 000000003B30: D3B0401E 1D20AD1E
	v_exp_f32_e32 v28, v28                                     // 000000003B38: 7E38411C
	v_exp_f32_e32 v29, v29                                     // 000000003B3C: 7E3A411D
	v_exp_f32_e32 v30, v30                                     // 000000003B40: 7E3C411E
	v_exp_f32_e32 v31, v31                                     // 000000003B44: 7E3E411F
	v_mul_f32_dpp v32, v68, v16 row_newbcast:0 row_mask:0xf bank_mask:0xf// 000000003B48: 0A4020FA FF015044
	v_mul_f32_dpp v33, v68, v17 row_newbcast:1 row_mask:0xf bank_mask:0xf// 000000003B50: 0A4222FA FF015144
	v_mul_f32_dpp v34, v68, v18 row_newbcast:2 row_mask:0xf bank_mask:0xf// 000000003B58: 0A4424FA FF015244
	v_mul_f32_dpp v35, v68, v19 row_newbcast:3 row_mask:0xf bank_mask:0xf// 000000003B60: 0A4626FA FF015344
	v_mul_f32_dpp v36, v68, v20 row_newbcast:4 row_mask:0xf bank_mask:0xf// 000000003B68: 0A4828FA FF015444
	v_mul_f32_dpp v37, v68, v21 row_newbcast:5 row_mask:0xf bank_mask:0xf// 000000003B70: 0A4A2AFA FF015544
	v_mul_f32_dpp v38, v68, v22 row_newbcast:6 row_mask:0xf bank_mask:0xf// 000000003B78: 0A4C2CFA FF015644
	v_mul_f32_dpp v39, v68, v23 row_newbcast:7 row_mask:0xf bank_mask:0xf// 000000003B80: 0A4E2EFA FF015744
	v_mul_f32_dpp v40, v68, v24 row_newbcast:8 row_mask:0xf bank_mask:0xf// 000000003B88: 0A5030FA FF015844
	v_mul_f32_dpp v41, v68, v25 row_newbcast:9 row_mask:0xf bank_mask:0xf// 000000003B90: 0A5232FA FF015944
	v_mul_f32_dpp v42, v68, v26 row_newbcast:10 row_mask:0xf bank_mask:0xf// 000000003B98: 0A5434FA FF015A44
	v_mul_f32_dpp v43, v68, v27 row_newbcast:11 row_mask:0xf bank_mask:0xf// 000000003BA0: 0A5636FA FF015B44
	v_mul_f32_dpp v44, v68, v28 row_newbcast:12 row_mask:0xf bank_mask:0xf// 000000003BA8: 0A5838FA FF015C44
	v_mul_f32_dpp v45, v68, v29 row_newbcast:13 row_mask:0xf bank_mask:0xf// 000000003BB0: 0A5A3AFA FF015D44
	v_mul_f32_dpp v46, v68, v30 row_newbcast:14 row_mask:0xf bank_mask:0xf// 000000003BB8: 0A5C3CFA FF015E44
	v_mul_f32_dpp v47, v68, v31 row_newbcast:15 row_mask:0xf bank_mask:0xf// 000000003BC0: 0A5E3EFA FF015F44
	v_mov_b32_e32 v92, 0x358637bd                              // 000000003BC8: 7EB802FF 358637BD
	v_max3_f32 v92, |v32|, |v33|, v92                          // 000000003BD0: D1D3035C 05724320
	v_max3_f32 v92, |v34|, |v35|, v92                          // 000000003BD8: D1D3035C 05724722
	v_max3_f32 v92, |v36|, |v37|, v92                          // 000000003BE0: D1D3035C 05724B24
	v_max3_f32 v92, |v38|, |v39|, v92                          // 000000003BE8: D1D3035C 05724F26
	v_max3_f32 v92, |v40|, |v41|, v92                          // 000000003BF0: D1D3035C 05725328
	v_max3_f32 v92, |v42|, |v43|, v92                          // 000000003BF8: D1D3035C 0572572A
	v_max3_f32 v92, |v44|, |v45|, v92                          // 000000003C00: D1D3035C 05725B2C
	v_max3_f32 v92, |v46|, |v47|, v92                          // 000000003C08: D1D3035C 05725F2E
	ds_write_b32 v122, v92 offset:1280                         // 000000003C10: D81A0500 00005C7A
	buffer_load_dword v67, v114, s[28:31], 0 offen             // 000000003C18: E0501000 80074372
	v_sub_f32_e32 v94, v96, v97                                // 000000003C20: 04BCC360
	v_cmp_eq_u32_e64 s[84:85], v105, v96                       // 000000003C24: D0CA0054 0002C169
	s_nop 0                                                    // 000000003C2C: BF800000
	v_cndmask_b32_e64 v94, v94, 0, s[84:85]                    // 000000003C30: D100005E 0151015E
	v_mov_b32_e32 v96, v97                                     // 000000003C38: 7EC00361
	v_mul_f32_e32 v94, s51, v94                                // 000000003C3C: 0ABCBC33
	v_exp_f32_e32 v94, v94                                     // 000000003C40: 7EBC415E
	s_nop 0                                                    // 000000003C44: BF800000
	v_mov_b32_e32 v95, v94                                     // 000000003C48: 7EBE035E
	buffer_load_dword v69, v115, s[32:35], 0 offen             // 000000003C4C: E0501000 80084573
	s_waitcnt lgkmcnt(0)                                       // 000000003C54: BF8CC07F
	s_barrier                                                  // 000000003C58: BF8A0000
	ds_read_b32 v76, v123 offset:1280                          // 000000003C5C: D86C0500 4C00007B
	ds_read_b32 v77, v123 offset:1344                          // 000000003C64: D86C0540 4D00007B
	ds_read_b32 v78, v123 offset:1408                          // 000000003C6C: D86C0580 4E00007B
	ds_read_b32 v79, v123 offset:1472                          // 000000003C74: D86C05C0 4F00007B
	ds_read_b32 v80, v123 offset:1536                          // 000000003C7C: D86C0600 5000007B
	ds_read_b32 v81, v123 offset:1600                          // 000000003C84: D86C0640 5100007B
	ds_read_b32 v82, v123 offset:1664                          // 000000003C8C: D86C0680 5200007B
	ds_read_b32 v83, v123 offset:1728                          // 000000003C94: D86C06C0 5300007B
	ds_read_b32 v84, v123 offset:1792                          // 000000003C9C: D86C0700 5400007B
	ds_read_b32 v85, v123 offset:1856                          // 000000003CA4: D86C0740 5500007B
	ds_read_b32 v86, v123 offset:1920                          // 000000003CAC: D86C0780 5600007B
	ds_read_b32 v87, v123 offset:1984                          // 000000003CB4: D86C07C0 5700007B
	ds_read_b32 v88, v123 offset:2048                          // 000000003CBC: D86C0800 5800007B
	ds_read_b32 v89, v123 offset:2112                          // 000000003CC4: D86C0840 5900007B
	ds_read_b32 v90, v123 offset:2176                          // 000000003CCC: D86C0880 5A00007B
	ds_read_b32 v91, v123 offset:2240                          // 000000003CD4: D86C08C0 5B00007B
	buffer_load_dwordx4 a[96:99], v110, s[16:19], 0 offen      // 000000003CDC: E05C1000 8084606E
	v_mul_f32_e32 v98, v94, v98                                // 000000003CE4: 0AC4C55E
	v_add_f32_e32 v98, v16, v98                                // 000000003CE8: 02C4C510
	v_add_f32_e32 v98, v17, v98                                // 000000003CEC: 02C4C511
	v_add_f32_e32 v98, v18, v98                                // 000000003CF0: 02C4C512
	v_add_f32_e32 v98, v19, v98                                // 000000003CF4: 02C4C513
	v_add_f32_e32 v98, v20, v98                                // 000000003CF8: 02C4C514
	v_add_f32_e32 v98, v21, v98                                // 000000003CFC: 02C4C515
	v_add_f32_e32 v98, v22, v98                                // 000000003D00: 02C4C516
	v_add_f32_e32 v98, v23, v98                                // 000000003D04: 02C4C517
	v_add_f32_e32 v98, v24, v98                                // 000000003D08: 02C4C518
	v_add_f32_e32 v98, v25, v98                                // 000000003D0C: 02C4C519
	v_add_f32_e32 v98, v26, v98                                // 000000003D10: 02C4C51A
	v_add_f32_e32 v98, v27, v98                                // 000000003D14: 02C4C51B
	v_add_f32_e32 v98, v28, v98                                // 000000003D18: 02C4C51C
	v_add_f32_e32 v98, v29, v98                                // 000000003D1C: 02C4C51D
	v_add_f32_e32 v98, v30, v98                                // 000000003D20: 02C4C51E
	v_add_f32_e32 v98, v31, v98                                // 000000003D24: 02C4C51F
	buffer_load_dwordx4 a[100:103], v111, s[16:19], 0 offen    // 000000003D28: E05C1000 8084646F
	s_waitcnt lgkmcnt(0)                                       // 000000003D30: BF8CC07F
	v_max3_f32 v92, v76, v77, v92                              // 000000003D34: D1D3005C 05729B4C
	v_max3_f32 v92, v78, v79, v92                              // 000000003D3C: D1D3005C 05729F4E
	v_max3_f32 v92, v80, v81, v92                              // 000000003D44: D1D3005C 0572A350
	v_max3_f32 v92, v82, v83, v92                              // 000000003D4C: D1D3005C 0572A752
	v_max3_f32 v92, v84, v85, v92                              // 000000003D54: D1D3005C 0572AB54
	v_max3_f32 v92, v86, v87, v92                              // 000000003D5C: D1D3005C 0572AF56
	v_max3_f32 v92, v88, v89, v92                              // 000000003D64: D1D3005C 0572B358
	v_max3_f32 v92, v90, v91, v92                              // 000000003D6C: D1D3005C 0572B75A
	v_rcp_f32_e32 v92, v92                                     // 000000003D74: 7EB8455C
	s_nop 0                                                    // 000000003D78: BF800000
	v_mul_f32_e32 v92, 0x43700000, v92                         // 000000003D7C: 0AB8B8FF 43700000
	v_mov_b32_e32 v93, v92                                     // 000000003D84: 7EBA035C
	v_pk_mul_f32 v[16:17], v[92:93], v[32:33]                  // 000000003D88: D3B14010 1802415C
	v_pk_mul_f32 v[18:19], v[92:93], v[34:35]                  // 000000003D90: D3B14012 1802455C
	v_pk_mul_f32 v[20:21], v[92:93], v[36:37]                  // 000000003D98: D3B14014 1802495C
	v_pk_mul_f32 v[22:23], v[92:93], v[38:39]                  // 000000003DA0: D3B14016 18024D5C
	v_pk_mul_f32 v[24:25], v[92:93], v[40:41]                  // 000000003DA8: D3B14018 1802515C
	v_pk_mul_f32 v[26:27], v[92:93], v[42:43]                  // 000000003DB0: D3B1401A 1802555C
	v_pk_mul_f32 v[28:29], v[92:93], v[44:45]                  // 000000003DB8: D3B1401C 1802595C
	v_pk_mul_f32 v[30:31], v[92:93], v[46:47]                  // 000000003DC0: D3B1401E 18025D5C
	v_cvt_pk_fp8_f32 v16, v16, v17                             // 000000003DC8: D2A20010 00022310
	v_cvt_pk_fp8_f32 v16, v18, v19 op_sel:[0,0,1]              // 000000003DD0: D2A24010 00022712
	v_cvt_pk_fp8_f32 v17, v20, v21                             // 000000003DD8: D2A20011 00022B14
	v_cvt_pk_fp8_f32 v17, v22, v23 op_sel:[0,0,1]              // 000000003DE0: D2A24011 00022F16
	v_cvt_pk_fp8_f32 v18, v24, v25                             // 000000003DE8: D2A20012 00023318
	v_cvt_pk_fp8_f32 v18, v26, v27 op_sel:[0,0,1]              // 000000003DF0: D2A24012 0002371A
	v_cvt_pk_fp8_f32 v19, v28, v29                             // 000000003DF8: D2A20013 00023B1C
	v_cvt_pk_fp8_f32 v19, v30, v31 op_sel:[0,0,1]              // 000000003E00: D2A24013 00023F1E
	ds_write_b32 v124, v16 offset:2560                         // 000000003E08: D81A0A00 0000107C
	ds_write_b32 v124, v17 offset:3584                         // 000000003E10: D81A0E00 0000117C
	ds_write_b32 v124, v18 offset:4608                         // 000000003E18: D81A1200 0000127C
	ds_write_b32 v124, v19 offset:5632                         // 000000003E20: D81A1600 0000137C
	v_rcp_f32_e32 v70, v92                                     // 000000003E28: 7E8C455C
	s_nop 0                                                    // 000000003E2C: BF800000
	v_mov_b32_e32 v71, v70                                     // 000000003E30: 7E8E0346
	buffer_load_dwordx4 a[104:107], v112, s[16:19], 0 offen    // 000000003E34: E05C1000 80846870
	v_pk_add_f32 v[56:57], v[56:57], v[48:49]                  // 000000003E3C: D3B24038 18026138
	v_pk_add_f32 v[58:59], v[58:59], v[50:51]                  // 000000003E44: D3B2403A 1802653A
	v_pk_add_f32 v[60:61], v[60:61], v[52:53]                  // 000000003E4C: D3B2403C 1802693C
	v_pk_add_f32 v[62:63], v[62:63], v[54:55]                  // 000000003E54: D3B2403E 18026D3E
	s_waitcnt lgkmcnt(0)                                       // 000000003E5C: BF8CC07F
	s_barrier                                                  // 000000003E60: BF8A0000
	ds_read_b128 v[16:19], v125 offset:2560                    // 000000003E64: D9FE0A00 1000007D
	ds_read_b128 v[20:23], v125 offset:3584                    // 000000003E6C: D9FE0E00 1400007D
	ds_read_b128 v[24:27], v125 offset:4608                    // 000000003E74: D9FE1200 1800007D
	ds_read_b128 v[28:31], v125 offset:5632                    // 000000003E7C: D9FE1600 1C00007D
	buffer_load_dwordx4 a[108:111], v113, s[16:19], 0 offen    // 000000003E84: E05C1000 80846C71
	s_waitcnt vmcnt(14)                                        // 000000003E8C: BF8C0F7E
	s_waitcnt lgkmcnt(3)                                       // 000000003E90: BF8CC37F
	v_mfma_f32_16x16x32_fp8_fp8 v[48:51], a[64:65], v[16:17], 0// 000000003E94: D3F30030 0A022140
	v_mfma_f32_16x16x32_fp8_fp8 v[52:55], a[80:81], v[16:17], 0// 000000003E9C: D3F30034 0A022150
	v_mfma_f32_16x16x32_fp8_fp8 v[48:51], a[66:67], v[18:19], v[48:51]// 000000003EA4: D3F30030 0CC22542
	v_mfma_f32_16x16x32_fp8_fp8 v[52:55], a[82:83], v[18:19], v[52:55]// 000000003EAC: D3F30034 0CD22552
	buffer_load_dwordx4 a[112:115], v110, s[16:19], 0 offen offset:1024// 000000003EB4: E05C1400 8084706E
	s_waitcnt lgkmcnt(2)                                       // 000000003EBC: BF8CC27F
	v_mfma_f32_16x16x32_fp8_fp8 v[48:51], a[68:69], v[20:21], v[48:51]// 000000003EC0: D3F30030 0CC22944
	v_mfma_f32_16x16x32_fp8_fp8 v[52:55], a[84:85], v[20:21], v[52:55]// 000000003EC8: D3F30034 0CD22954
	v_mfma_f32_16x16x32_fp8_fp8 v[48:51], a[70:71], v[22:23], v[48:51]// 000000003ED0: D3F30030 0CC22D46
	v_mfma_f32_16x16x32_fp8_fp8 v[52:55], a[86:87], v[22:23], v[52:55]// 000000003ED8: D3F30034 0CD22D56
	buffer_load_dwordx4 a[116:119], v111, s[16:19], 0 offen offset:1024// 000000003EE0: E05C1400 8084746F
	s_waitcnt lgkmcnt(1)                                       // 000000003EE8: BF8CC17F
	v_mfma_f32_16x16x32_fp8_fp8 v[48:51], a[72:73], v[24:25], v[48:51]// 000000003EEC: D3F30030 0CC23148
	v_mfma_f32_16x16x32_fp8_fp8 v[52:55], a[88:89], v[24:25], v[52:55]// 000000003EF4: D3F30034 0CD23158
	v_mfma_f32_16x16x32_fp8_fp8 v[48:51], a[74:75], v[26:27], v[48:51]// 000000003EFC: D3F30030 0CC2354A
	v_mfma_f32_16x16x32_fp8_fp8 v[52:55], a[90:91], v[26:27], v[52:55]// 000000003F04: D3F30034 0CD2355A
	buffer_load_dwordx4 a[120:123], v112, s[16:19], 0 offen offset:1024// 000000003F0C: E05C1400 80847870
	s_waitcnt lgkmcnt(0)                                       // 000000003F14: BF8CC07F
	v_mfma_f32_16x16x32_fp8_fp8 v[48:51], a[76:77], v[28:29], v[48:51]// 000000003F18: D3F30030 0CC2394C
	v_mfma_f32_16x16x32_fp8_fp8 v[52:55], a[92:93], v[28:29], v[52:55]// 000000003F20: D3F30034 0CD2395C
	v_mfma_f32_16x16x32_fp8_fp8 v[48:51], a[78:79], v[30:31], v[48:51]// 000000003F28: D3F30030 0CC23D4E
	v_mfma_f32_16x16x32_fp8_fp8 v[52:55], a[94:95], v[30:31], v[52:55]// 000000003F30: D3F30034 0CD23D5E
	buffer_load_dwordx4 a[124:127], v113, s[16:19], 0 offen offset:1024// 000000003F38: E05C1400 80847C71
	s_addk_i32 s49, 0x100                                      // 000000003F40: B7310100
	s_cmp_lt_i32 s49, s50                                      // 000000003F44: BF043231
	s_cbranch_scc0 label_1351                                  // 000000003F48: BF840BBE
	s_waitcnt vmcnt(10)                                        // 000000003F4C: BF8C0F7A
	v_mfma_f32_16x16x32_fp8_fp8 v[16:19], a[32:33], v[8:9], 0  // 000000003F50: D3F30010 0A021120
	s_add_u32 s12, s76, s63                                    // 000000003F58: 800C3F4C
	s_addc_u32 s13, s77, 0                                     // 000000003F5C: 820D804D
	v_mfma_f32_16x16x32_fp8_fp8 v[16:19], a[34:35], v[10:11], v[16:19]// 000000003F60: D3F30010 0C421522
	buffer_load_dwordx4 a[0:3], v108, s[12:15], 0 offen        // 000000003F68: E05C1000 8083006C
	v_mfma_f32_16x16x32_fp8_fp8 v[16:19], a[36:37], v[12:13], v[16:19]// 000000003F70: D3F30010 0C421924
	s_add_u32 s16, s78, s64                                    // 000000003F78: 8010404E
	s_addc_u32 s17, s79, 0                                     // 000000003F7C: 8211804F
	v_mfma_f32_16x16x32_fp8_fp8 v[16:19], a[38:39], v[14:15], v[16:19]// 000000003F80: D3F30010 0C421D26
	s_add_u32 s28, s80, s65                                    // 000000003F88: 801C4150
	s_addc_u32 s29, s81, 0                                     // 000000003F8C: 821D8051
	v_mfma_f32_16x16x32_fp8_fp8 v[20:23], a[40:41], v[8:9], 0  // 000000003F90: D3F30014 0A021128
	s_add_u32 s32, s82, s65                                    // 000000003F98: 80204152
	s_addc_u32 s33, s83, 0                                     // 000000003F9C: 82218053
	v_mfma_f32_16x16x32_fp8_fp8 v[20:23], a[42:43], v[10:11], v[20:23]// 000000003FA0: D3F30014 0C52152A
	buffer_load_dwordx4 a[4:7], v109, s[12:15], 0 offen        // 000000003FA8: E05C1000 8083046D
	v_mfma_f32_16x16x32_fp8_fp8 v[20:23], a[44:45], v[12:13], v[20:23]// 000000003FB0: D3F30014 0C52192C
	s_add_u32 s63, s63, 0x1000                                 // 000000003FB8: 803FFF3F 00001000
	s_add_u32 s64, s64, 0x8000                                 // 000000003FC0: 8040FF40 00008000
	v_mfma_f32_16x16x32_fp8_fp8 v[20:23], a[46:47], v[14:15], v[20:23]// 000000003FC8: D3F30014 0C521D2E
	s_add_u32 s65, s65, 0x400                                  // 000000003FD0: 8041FF41 00000400
	v_mfma_f32_16x16x32_fp8_fp8 v[24:27], a[48:49], v[8:9], 0  // 000000003FD8: D3F30018 0A021130
	v_mfma_f32_16x16x32_fp8_fp8 v[24:27], a[50:51], v[10:11], v[24:27]// 000000003FE0: D3F30018 0C621532
	buffer_load_dwordx4 a[8:11], v108, s[12:15], 0 offen offset:1024// 000000003FE8: E05C1400 8083086C
	v_mfma_f32_16x16x32_fp8_fp8 v[24:27], a[52:53], v[12:13], v[24:27]// 000000003FF0: D3F30018 0C621934
	v_mfma_f32_16x16x32_fp8_fp8 v[24:27], a[54:55], v[14:15], v[24:27]// 000000003FF8: D3F30018 0C621D36
	v_mfma_f32_16x16x32_fp8_fp8 v[28:31], a[56:57], v[8:9], 0  // 000000004000: D3F3001C 0A021138
	v_mfma_f32_16x16x32_fp8_fp8 v[28:31], a[58:59], v[10:11], v[28:31]// 000000004008: D3F3001C 0C72153A
	buffer_load_dwordx4 a[12:15], v109, s[12:15], 0 offen offset:1024// 000000004010: E05C1400 80830C6D
	v_mfma_f32_16x16x32_fp8_fp8 v[28:31], a[60:61], v[12:13], v[28:31]// 000000004018: D3F3001C 0C72193C
	v_mfma_f32_16x16x32_fp8_fp8 v[28:31], a[62:63], v[14:15], v[28:31]// 000000004020: D3F3001C 0C721D3E
	s_waitcnt vmcnt(12)                                        // 000000004028: BF8C0F7C
	v_pk_mul_f32 v[16:17], v[64:65], v[16:17]                  // 00000000402C: D3B14010 18022140
	v_pk_mul_f32 v[18:19], v[64:65], v[18:19]                  // 000000004034: D3B14012 18022540
	v_mul_f32_dpp v16, v67, v16 row_newbcast:0 row_mask:0xf bank_mask:0xf// 00000000403C: 0A2020FA FF015043
	v_mul_f32_dpp v17, v67, v17 row_newbcast:1 row_mask:0xf bank_mask:0xf// 000000004044: 0A2222FA FF015143
	v_mul_f32_dpp v18, v67, v18 row_newbcast:2 row_mask:0xf bank_mask:0xf// 00000000404C: 0A2424FA FF015243
	v_mul_f32_dpp v19, v67, v19 row_newbcast:3 row_mask:0xf bank_mask:0xf// 000000004054: 0A2626FA FF015343
	v_pk_mul_f32 v[20:21], v[64:65], v[20:21]                  // 00000000405C: D3B14014 18022940
	v_pk_mul_f32 v[22:23], v[64:65], v[22:23]                  // 000000004064: D3B14016 18022D40
	v_mul_f32_dpp v20, v67, v20 row_newbcast:4 row_mask:0xf bank_mask:0xf// 00000000406C: 0A2828FA FF015443
	v_mul_f32_dpp v21, v67, v21 row_newbcast:5 row_mask:0xf bank_mask:0xf// 000000004074: 0A2A2AFA FF015543
	v_mul_f32_dpp v22, v67, v22 row_newbcast:6 row_mask:0xf bank_mask:0xf// 00000000407C: 0A2C2CFA FF015643
	v_mul_f32_dpp v23, v67, v23 row_newbcast:7 row_mask:0xf bank_mask:0xf// 000000004084: 0A2E2EFA FF015743
	v_pk_mul_f32 v[24:25], v[64:65], v[24:25]                  // 00000000408C: D3B14018 18023140
	v_pk_mul_f32 v[26:27], v[64:65], v[26:27]                  // 000000004094: D3B1401A 18023540
	v_mul_f32_dpp v24, v67, v24 row_newbcast:8 row_mask:0xf bank_mask:0xf// 00000000409C: 0A3030FA FF015843
	v_mul_f32_dpp v25, v67, v25 row_newbcast:9 row_mask:0xf bank_mask:0xf// 0000000040A4: 0A3232FA FF015943
	v_mul_f32_dpp v26, v67, v26 row_newbcast:10 row_mask:0xf bank_mask:0xf// 0000000040AC: 0A3434FA FF015A43
	v_mul_f32_dpp v27, v67, v27 row_newbcast:11 row_mask:0xf bank_mask:0xf// 0000000040B4: 0A3636FA FF015B43
	v_pk_mul_f32 v[28:29], v[64:65], v[28:29]                  // 0000000040BC: D3B1401C 18023940
	v_pk_mul_f32 v[30:31], v[64:65], v[30:31]                  // 0000000040C4: D3B1401E 18023D40
	v_mul_f32_dpp v28, v67, v28 row_newbcast:12 row_mask:0xf bank_mask:0xf// 0000000040CC: 0A3838FA FF015C43
	v_mul_f32_dpp v29, v67, v29 row_newbcast:13 row_mask:0xf bank_mask:0xf// 0000000040D4: 0A3A3AFA FF015D43
	v_mul_f32_dpp v30, v67, v30 row_newbcast:14 row_mask:0xf bank_mask:0xf// 0000000040DC: 0A3C3CFA FF015E43
	v_mul_f32_dpp v31, v67, v31 row_newbcast:15 row_mask:0xf bank_mask:0xf// 0000000040E4: 0A3E3EFA FF015F43
	buffer_load_dwordx4 a[16:19], v108, s[12:15], 0 offen offset:2048// 0000000040EC: E05C1800 8083106C
	v_mov_b32_e32 v92, v16                                     // 0000000040F4: 7EB80310
	v_max3_f32 v92, v16, v17, v92                              // 0000000040F8: D1D3005C 05722310
	v_max3_f32 v92, v18, v19, v92                              // 000000004100: D1D3005C 05722712
	v_max3_f32 v92, v20, v21, v92                              // 000000004108: D1D3005C 05722B14
	v_max3_f32 v92, v22, v23, v92                              // 000000004110: D1D3005C 05722F16
	v_max3_f32 v92, v24, v25, v92                              // 000000004118: D1D3005C 05723318
	v_max3_f32 v92, v26, v27, v92                              // 000000004120: D1D3005C 0572371A
	v_max3_f32 v92, v28, v29, v92                              // 000000004128: D1D3005C 05723B1C
	v_max3_f32 v92, v30, v31, v92                              // 000000004130: D1D3005C 05723F1E
	ds_write_b32 v122, v92                                     // 000000004138: D81A0000 00005C7A
	v_pk_mul_f32 v[56:57], v[94:95], v[56:57]                  // 000000004140: D3B14038 1802715E
	v_pk_mul_f32 v[58:59], v[94:95], v[58:59]                  // 000000004148: D3B1403A 1802755E
	v_pk_mul_f32 v[60:61], v[94:95], v[60:61]                  // 000000004150: D3B1403C 1802795E
	v_pk_mul_f32 v[62:63], v[94:95], v[62:63]                  // 000000004158: D3B1403E 18027D5E
	buffer_load_dwordx4 a[20:23], v109, s[12:15], 0 offen offset:2048// 000000004160: E05C1800 8083146D
	s_waitcnt lgkmcnt(0)                                       // 000000004168: BF8CC07F
	s_barrier                                                  // 00000000416C: BF8A0000
	ds_read_b32 v76, v123                                      // 000000004170: D86C0000 4C00007B
	ds_read_b32 v77, v123 offset:64                            // 000000004178: D86C0040 4D00007B
	ds_read_b32 v78, v123 offset:128                           // 000000004180: D86C0080 4E00007B
	ds_read_b32 v79, v123 offset:192                           // 000000004188: D86C00C0 4F00007B
	ds_read_b32 v80, v123 offset:256                           // 000000004190: D86C0100 5000007B
	ds_read_b32 v81, v123 offset:320                           // 000000004198: D86C0140 5100007B
	ds_read_b32 v82, v123 offset:384                           // 0000000041A0: D86C0180 5200007B
	ds_read_b32 v83, v123 offset:448                           // 0000000041A8: D86C01C0 5300007B
	ds_read_b32 v84, v123 offset:512                           // 0000000041B0: D86C0200 5400007B
	ds_read_b32 v85, v123 offset:576                           // 0000000041B8: D86C0240 5500007B
	ds_read_b32 v86, v123 offset:640                           // 0000000041C0: D86C0280 5600007B
	ds_read_b32 v87, v123 offset:704                           // 0000000041C8: D86C02C0 5700007B
	ds_read_b32 v88, v123 offset:768                           // 0000000041D0: D86C0300 5800007B
	ds_read_b32 v89, v123 offset:832                           // 0000000041D8: D86C0340 5900007B
	ds_read_b32 v90, v123 offset:896                           // 0000000041E0: D86C0380 5A00007B
	ds_read_b32 v91, v123 offset:960                           // 0000000041E8: D86C03C0 5B00007B
	buffer_load_dwordx4 a[28:31], v109, s[12:15], 0 offen offset:3072// 0000000041F0: E05C1C00 80831C6D
	v_pk_mul_f32 v[48:49], v[70:71], v[48:49]                  // 0000000041F8: D3B14030 18026146
	v_pk_mul_f32 v[50:51], v[70:71], v[50:51]                  // 000000004200: D3B14032 18026546
	v_pk_mul_f32 v[52:53], v[70:71], v[52:53]                  // 000000004208: D3B14034 18026946
	v_pk_mul_f32 v[54:55], v[70:71], v[54:55]                  // 000000004210: D3B14036 18026D46
	buffer_load_dwordx4 a[24:27], v108, s[12:15], 0 offen offset:3072// 000000004218: E05C1C00 8083186C
	s_waitcnt lgkmcnt(0)                                       // 000000004220: BF8CC07F
	v_max3_f32 v92, v76, v77, v92                              // 000000004224: D1D3005C 05729B4C
	v_max3_f32 v92, v78, v79, v92                              // 00000000422C: D1D3005C 05729F4E
	v_max3_f32 v92, v80, v81, v92                              // 000000004234: D1D3005C 0572A350
	v_max3_f32 v92, v82, v83, v92                              // 00000000423C: D1D3005C 0572A752
	v_max3_f32 v92, v84, v85, v92                              // 000000004244: D1D3005C 0572AB54
	v_max3_f32 v92, v86, v87, v92                              // 00000000424C: D1D3005C 0572AF56
	v_max3_f32 v92, v88, v89, v92                              // 000000004254: D1D3005C 0572B358
	v_max3_f32 v92, v90, v91, v92                              // 00000000425C: D1D3005C 0572B75A
	v_max_f32_e32 v97, v92, v96                                // 000000004264: 16C2C15C
	v_mul_f32_e64 v72, -s51, v97                               // 000000004268: D1050048 2002C233
	v_mov_b32_e32 v73, v72                                     // 000000004270: 7E920348
	v_pk_fma_f32 v[16:17], v[16:17], s[86:87], v[72:73]        // 000000004274: D3B04010 1D20AD10
	v_pk_fma_f32 v[18:19], v[18:19], s[86:87], v[72:73]        // 00000000427C: D3B04012 1D20AD12
	v_exp_f32_e32 v16, v16                                     // 000000004284: 7E204110
	v_exp_f32_e32 v17, v17                                     // 000000004288: 7E224111
	v_exp_f32_e32 v18, v18                                     // 00000000428C: 7E244112
	v_exp_f32_e32 v19, v19                                     // 000000004290: 7E264113
	v_pk_fma_f32 v[20:21], v[20:21], s[86:87], v[72:73]        // 000000004294: D3B04014 1D20AD14
	v_pk_fma_f32 v[22:23], v[22:23], s[86:87], v[72:73]        // 00000000429C: D3B04016 1D20AD16
	v_exp_f32_e32 v20, v20                                     // 0000000042A4: 7E284114
	v_exp_f32_e32 v21, v21                                     // 0000000042A8: 7E2A4115
	v_exp_f32_e32 v22, v22                                     // 0000000042AC: 7E2C4116
	v_exp_f32_e32 v23, v23                                     // 0000000042B0: 7E2E4117
	v_pk_fma_f32 v[24:25], v[24:25], s[86:87], v[72:73]        // 0000000042B4: D3B04018 1D20AD18
	v_pk_fma_f32 v[26:27], v[26:27], s[86:87], v[72:73]        // 0000000042BC: D3B0401A 1D20AD1A
	v_exp_f32_e32 v24, v24                                     // 0000000042C4: 7E304118
	v_exp_f32_e32 v25, v25                                     // 0000000042C8: 7E324119
	v_exp_f32_e32 v26, v26                                     // 0000000042CC: 7E34411A
	v_exp_f32_e32 v27, v27                                     // 0000000042D0: 7E36411B
	v_pk_fma_f32 v[28:29], v[28:29], s[86:87], v[72:73]        // 0000000042D4: D3B0401C 1D20AD1C
	v_pk_fma_f32 v[30:31], v[30:31], s[86:87], v[72:73]        // 0000000042DC: D3B0401E 1D20AD1E
	v_exp_f32_e32 v28, v28                                     // 0000000042E4: 7E38411C
	v_exp_f32_e32 v29, v29                                     // 0000000042E8: 7E3A411D
	v_exp_f32_e32 v30, v30                                     // 0000000042EC: 7E3C411E
	v_exp_f32_e32 v31, v31                                     // 0000000042F0: 7E3E411F
	v_mul_f32_dpp v32, v69, v16 row_newbcast:0 row_mask:0xf bank_mask:0xf// 0000000042F4: 0A4020FA FF015045
	v_mul_f32_dpp v33, v69, v17 row_newbcast:1 row_mask:0xf bank_mask:0xf// 0000000042FC: 0A4222FA FF015145
	v_mul_f32_dpp v34, v69, v18 row_newbcast:2 row_mask:0xf bank_mask:0xf// 000000004304: 0A4424FA FF015245
	v_mul_f32_dpp v35, v69, v19 row_newbcast:3 row_mask:0xf bank_mask:0xf// 00000000430C: 0A4626FA FF015345
	v_mul_f32_dpp v36, v69, v20 row_newbcast:4 row_mask:0xf bank_mask:0xf// 000000004314: 0A4828FA FF015445
	v_mul_f32_dpp v37, v69, v21 row_newbcast:5 row_mask:0xf bank_mask:0xf// 00000000431C: 0A4A2AFA FF015545
	v_mul_f32_dpp v38, v69, v22 row_newbcast:6 row_mask:0xf bank_mask:0xf// 000000004324: 0A4C2CFA FF015645
	v_mul_f32_dpp v39, v69, v23 row_newbcast:7 row_mask:0xf bank_mask:0xf// 00000000432C: 0A4E2EFA FF015745
	v_mul_f32_dpp v40, v69, v24 row_newbcast:8 row_mask:0xf bank_mask:0xf// 000000004334: 0A5030FA FF015845
	v_mul_f32_dpp v41, v69, v25 row_newbcast:9 row_mask:0xf bank_mask:0xf// 00000000433C: 0A5232FA FF015945
	v_mul_f32_dpp v42, v69, v26 row_newbcast:10 row_mask:0xf bank_mask:0xf// 000000004344: 0A5434FA FF015A45
	v_mul_f32_dpp v43, v69, v27 row_newbcast:11 row_mask:0xf bank_mask:0xf// 00000000434C: 0A5636FA FF015B45
	v_mul_f32_dpp v44, v69, v28 row_newbcast:12 row_mask:0xf bank_mask:0xf// 000000004354: 0A5838FA FF015C45
	v_mul_f32_dpp v45, v69, v29 row_newbcast:13 row_mask:0xf bank_mask:0xf// 00000000435C: 0A5A3AFA FF015D45
	v_mul_f32_dpp v46, v69, v30 row_newbcast:14 row_mask:0xf bank_mask:0xf// 000000004364: 0A5C3CFA FF015E45
	v_mul_f32_dpp v47, v69, v31 row_newbcast:15 row_mask:0xf bank_mask:0xf// 00000000436C: 0A5E3EFA FF015F45
	v_mov_b32_e32 v92, 0x358637bd                              // 000000004374: 7EB802FF 358637BD
	v_max3_f32 v92, |v32|, |v33|, v92                          // 00000000437C: D1D3035C 05724320
	v_max3_f32 v92, |v34|, |v35|, v92                          // 000000004384: D1D3035C 05724722
	v_max3_f32 v92, |v36|, |v37|, v92                          // 00000000438C: D1D3035C 05724B24
	v_max3_f32 v92, |v38|, |v39|, v92                          // 000000004394: D1D3035C 05724F26
	v_max3_f32 v92, |v40|, |v41|, v92                          // 00000000439C: D1D3035C 05725328
	v_max3_f32 v92, |v42|, |v43|, v92                          // 0000000043A4: D1D3035C 0572572A
	v_max3_f32 v92, |v44|, |v45|, v92                          // 0000000043AC: D1D3035C 05725B2C
	v_max3_f32 v92, |v46|, |v47|, v92                          // 0000000043B4: D1D3035C 05725F2E
	ds_write_b32 v122, v92 offset:1280                         // 0000000043BC: D81A0500 00005C7A
	buffer_load_dword v66, v114, s[28:31], 0 offen             // 0000000043C4: E0501000 80074272
	v_sub_f32_e32 v94, v96, v97                                // 0000000043CC: 04BCC360
	v_cmp_eq_u32_e64 s[84:85], v105, v96                       // 0000000043D0: D0CA0054 0002C169
	s_nop 0                                                    // 0000000043D8: BF800000
	v_cndmask_b32_e64 v94, v94, 0, s[84:85]                    // 0000000043DC: D100005E 0151015E
	v_mov_b32_e32 v96, v97                                     // 0000000043E4: 7EC00361
	v_mul_f32_e32 v94, s51, v94                                // 0000000043E8: 0ABCBC33
	v_exp_f32_e32 v94, v94                                     // 0000000043EC: 7EBC415E
	s_nop 0                                                    // 0000000043F0: BF800000
	v_mov_b32_e32 v95, v94                                     // 0000000043F4: 7EBE035E
	buffer_load_dword v68, v115, s[32:35], 0 offen             // 0000000043F8: E0501000 80084473
	s_waitcnt lgkmcnt(0)                                       // 000000004400: BF8CC07F
	s_barrier                                                  // 000000004404: BF8A0000
	ds_read_b32 v76, v123 offset:1280                          // 000000004408: D86C0500 4C00007B
	ds_read_b32 v77, v123 offset:1344                          // 000000004410: D86C0540 4D00007B
	ds_read_b32 v78, v123 offset:1408                          // 000000004418: D86C0580 4E00007B
	ds_read_b32 v79, v123 offset:1472                          // 000000004420: D86C05C0 4F00007B
	ds_read_b32 v80, v123 offset:1536                          // 000000004428: D86C0600 5000007B
	ds_read_b32 v81, v123 offset:1600                          // 000000004430: D86C0640 5100007B
	ds_read_b32 v82, v123 offset:1664                          // 000000004438: D86C0680 5200007B
	ds_read_b32 v83, v123 offset:1728                          // 000000004440: D86C06C0 5300007B
	ds_read_b32 v84, v123 offset:1792                          // 000000004448: D86C0700 5400007B
	ds_read_b32 v85, v123 offset:1856                          // 000000004450: D86C0740 5500007B
	ds_read_b32 v86, v123 offset:1920                          // 000000004458: D86C0780 5600007B
	ds_read_b32 v87, v123 offset:1984                          // 000000004460: D86C07C0 5700007B
	ds_read_b32 v88, v123 offset:2048                          // 000000004468: D86C0800 5800007B
	ds_read_b32 v89, v123 offset:2112                          // 000000004470: D86C0840 5900007B
	ds_read_b32 v90, v123 offset:2176                          // 000000004478: D86C0880 5A00007B
	ds_read_b32 v91, v123 offset:2240                          // 000000004480: D86C08C0 5B00007B
	buffer_load_dwordx4 a[64:67], v110, s[16:19], 0 offen      // 000000004488: E05C1000 8084406E
	v_mul_f32_e32 v98, v94, v98                                // 000000004490: 0AC4C55E
	v_add_f32_e32 v98, v16, v98                                // 000000004494: 02C4C510
	v_add_f32_e32 v98, v17, v98                                // 000000004498: 02C4C511
	v_add_f32_e32 v98, v18, v98                                // 00000000449C: 02C4C512
	v_add_f32_e32 v98, v19, v98                                // 0000000044A0: 02C4C513
	v_add_f32_e32 v98, v20, v98                                // 0000000044A4: 02C4C514
	v_add_f32_e32 v98, v21, v98                                // 0000000044A8: 02C4C515
	v_add_f32_e32 v98, v22, v98                                // 0000000044AC: 02C4C516
	v_add_f32_e32 v98, v23, v98                                // 0000000044B0: 02C4C517
	v_add_f32_e32 v98, v24, v98                                // 0000000044B4: 02C4C518
	v_add_f32_e32 v98, v25, v98                                // 0000000044B8: 02C4C519
	v_add_f32_e32 v98, v26, v98                                // 0000000044BC: 02C4C51A
	v_add_f32_e32 v98, v27, v98                                // 0000000044C0: 02C4C51B
	v_add_f32_e32 v98, v28, v98                                // 0000000044C4: 02C4C51C
	v_add_f32_e32 v98, v29, v98                                // 0000000044C8: 02C4C51D
	v_add_f32_e32 v98, v30, v98                                // 0000000044CC: 02C4C51E
	v_add_f32_e32 v98, v31, v98                                // 0000000044D0: 02C4C51F
	buffer_load_dwordx4 a[68:71], v111, s[16:19], 0 offen      // 0000000044D4: E05C1000 8084446F
	s_waitcnt lgkmcnt(0)                                       // 0000000044DC: BF8CC07F
	v_max3_f32 v92, v76, v77, v92                              // 0000000044E0: D1D3005C 05729B4C
	v_max3_f32 v92, v78, v79, v92                              // 0000000044E8: D1D3005C 05729F4E
	v_max3_f32 v92, v80, v81, v92                              // 0000000044F0: D1D3005C 0572A350
	v_max3_f32 v92, v82, v83, v92                              // 0000000044F8: D1D3005C 0572A752
	v_max3_f32 v92, v84, v85, v92                              // 000000004500: D1D3005C 0572AB54
	v_max3_f32 v92, v86, v87, v92                              // 000000004508: D1D3005C 0572AF56
	v_max3_f32 v92, v88, v89, v92                              // 000000004510: D1D3005C 0572B358
	v_max3_f32 v92, v90, v91, v92                              // 000000004518: D1D3005C 0572B75A
	v_rcp_f32_e32 v92, v92                                     // 000000004520: 7EB8455C
	s_nop 0                                                    // 000000004524: BF800000
	v_mul_f32_e32 v92, 0x43700000, v92                         // 000000004528: 0AB8B8FF 43700000
	v_mov_b32_e32 v93, v92                                     // 000000004530: 7EBA035C
	v_pk_mul_f32 v[16:17], v[92:93], v[32:33]                  // 000000004534: D3B14010 1802415C
	v_pk_mul_f32 v[18:19], v[92:93], v[34:35]                  // 00000000453C: D3B14012 1802455C
	v_pk_mul_f32 v[20:21], v[92:93], v[36:37]                  // 000000004544: D3B14014 1802495C
	v_pk_mul_f32 v[22:23], v[92:93], v[38:39]                  // 00000000454C: D3B14016 18024D5C
	v_pk_mul_f32 v[24:25], v[92:93], v[40:41]                  // 000000004554: D3B14018 1802515C
	v_pk_mul_f32 v[26:27], v[92:93], v[42:43]                  // 00000000455C: D3B1401A 1802555C
	v_pk_mul_f32 v[28:29], v[92:93], v[44:45]                  // 000000004564: D3B1401C 1802595C
	v_pk_mul_f32 v[30:31], v[92:93], v[46:47]                  // 00000000456C: D3B1401E 18025D5C
	v_cvt_pk_fp8_f32 v16, v16, v17                             // 000000004574: D2A20010 00022310
	v_cvt_pk_fp8_f32 v16, v18, v19 op_sel:[0,0,1]              // 00000000457C: D2A24010 00022712
	v_cvt_pk_fp8_f32 v17, v20, v21                             // 000000004584: D2A20011 00022B14
	v_cvt_pk_fp8_f32 v17, v22, v23 op_sel:[0,0,1]              // 00000000458C: D2A24011 00022F16
	v_cvt_pk_fp8_f32 v18, v24, v25                             // 000000004594: D2A20012 00023318
	v_cvt_pk_fp8_f32 v18, v26, v27 op_sel:[0,0,1]              // 00000000459C: D2A24012 0002371A
	v_cvt_pk_fp8_f32 v19, v28, v29                             // 0000000045A4: D2A20013 00023B1C
	v_cvt_pk_fp8_f32 v19, v30, v31 op_sel:[0,0,1]              // 0000000045AC: D2A24013 00023F1E
	ds_write_b32 v124, v16 offset:2560                         // 0000000045B4: D81A0A00 0000107C
	ds_write_b32 v124, v17 offset:3584                         // 0000000045BC: D81A0E00 0000117C
	ds_write_b32 v124, v18 offset:4608                         // 0000000045C4: D81A1200 0000127C
	ds_write_b32 v124, v19 offset:5632                         // 0000000045CC: D81A1600 0000137C
	v_rcp_f32_e32 v70, v92                                     // 0000000045D4: 7E8C455C
	s_nop 0                                                    // 0000000045D8: BF800000
	v_mov_b32_e32 v71, v70                                     // 0000000045DC: 7E8E0346
	buffer_load_dwordx4 a[72:75], v112, s[16:19], 0 offen      // 0000000045E0: E05C1000 80844870
	v_pk_add_f32 v[56:57], v[56:57], v[48:49]                  // 0000000045E8: D3B24038 18026138
	v_pk_add_f32 v[58:59], v[58:59], v[50:51]                  // 0000000045F0: D3B2403A 1802653A
	v_pk_add_f32 v[60:61], v[60:61], v[52:53]                  // 0000000045F8: D3B2403C 1802693C
	v_pk_add_f32 v[62:63], v[62:63], v[54:55]                  // 000000004600: D3B2403E 18026D3E
	s_waitcnt lgkmcnt(0)                                       // 000000004608: BF8CC07F
	s_barrier                                                  // 00000000460C: BF8A0000
	ds_read_b128 v[16:19], v125 offset:2560                    // 000000004610: D9FE0A00 1000007D
	ds_read_b128 v[20:23], v125 offset:3584                    // 000000004618: D9FE0E00 1400007D
	ds_read_b128 v[24:27], v125 offset:4608                    // 000000004620: D9FE1200 1800007D
	ds_read_b128 v[28:31], v125 offset:5632                    // 000000004628: D9FE1600 1C00007D
	buffer_load_dwordx4 a[76:79], v113, s[16:19], 0 offen      // 000000004630: E05C1000 80844C71
	s_waitcnt vmcnt(14)                                        // 000000004638: BF8C0F7E
	s_waitcnt lgkmcnt(3)                                       // 00000000463C: BF8CC37F
	v_mfma_f32_16x16x32_fp8_fp8 v[48:51], a[96:97], v[16:17], 0// 000000004640: D3F30030 0A022160
	v_mfma_f32_16x16x32_fp8_fp8 v[52:55], a[112:113], v[16:17], 0// 000000004648: D3F30034 0A022170
	v_mfma_f32_16x16x32_fp8_fp8 v[48:51], a[98:99], v[18:19], v[48:51]// 000000004650: D3F30030 0CC22562
	v_mfma_f32_16x16x32_fp8_fp8 v[52:55], a[114:115], v[18:19], v[52:55]// 000000004658: D3F30034 0CD22572
	buffer_load_dwordx4 a[80:83], v110, s[16:19], 0 offen offset:1024// 000000004660: E05C1400 8084506E
	s_waitcnt lgkmcnt(2)                                       // 000000004668: BF8CC27F
	v_mfma_f32_16x16x32_fp8_fp8 v[48:51], a[100:101], v[20:21], v[48:51]// 00000000466C: D3F30030 0CC22964
	v_mfma_f32_16x16x32_fp8_fp8 v[52:55], a[116:117], v[20:21], v[52:55]// 000000004674: D3F30034 0CD22974
	v_mfma_f32_16x16x32_fp8_fp8 v[48:51], a[102:103], v[22:23], v[48:51]// 00000000467C: D3F30030 0CC22D66
	v_mfma_f32_16x16x32_fp8_fp8 v[52:55], a[118:119], v[22:23], v[52:55]// 000000004684: D3F30034 0CD22D76
	buffer_load_dwordx4 a[84:87], v111, s[16:19], 0 offen offset:1024// 00000000468C: E05C1400 8084546F
	s_waitcnt lgkmcnt(1)                                       // 000000004694: BF8CC17F
	v_mfma_f32_16x16x32_fp8_fp8 v[48:51], a[104:105], v[24:25], v[48:51]// 000000004698: D3F30030 0CC23168
	v_mfma_f32_16x16x32_fp8_fp8 v[52:55], a[120:121], v[24:25], v[52:55]// 0000000046A0: D3F30034 0CD23178
	v_mfma_f32_16x16x32_fp8_fp8 v[48:51], a[106:107], v[26:27], v[48:51]// 0000000046A8: D3F30030 0CC2356A
	v_mfma_f32_16x16x32_fp8_fp8 v[52:55], a[122:123], v[26:27], v[52:55]// 0000000046B0: D3F30034 0CD2357A
	buffer_load_dwordx4 a[88:91], v112, s[16:19], 0 offen offset:1024// 0000000046B8: E05C1400 80845870
	s_waitcnt lgkmcnt(0)                                       // 0000000046C0: BF8CC07F
	v_mfma_f32_16x16x32_fp8_fp8 v[48:51], a[108:109], v[28:29], v[48:51]// 0000000046C4: D3F30030 0CC2396C
	v_mfma_f32_16x16x32_fp8_fp8 v[52:55], a[124:125], v[28:29], v[52:55]// 0000000046CC: D3F30034 0CD2397C
	v_mfma_f32_16x16x32_fp8_fp8 v[48:51], a[110:111], v[30:31], v[48:51]// 0000000046D4: D3F30030 0CC23D6E
	v_mfma_f32_16x16x32_fp8_fp8 v[52:55], a[126:127], v[30:31], v[52:55]// 0000000046DC: D3F30034 0CD23D7E
	buffer_load_dwordx4 a[92:95], v113, s[16:19], 0 offen offset:1024// 0000000046E4: E05C1400 80845C71
	s_addk_i32 s49, 0x100                                      // 0000000046EC: B7310100
	s_branch label_01CC                                        // 0000000046F0: BF82F84F

00000000000046f4 <label_097D>:
	s_cmp_lt_i32 s49, s50                                      // 0000000046F4: BF043231
	s_cbranch_scc0 label_112E                                  // 0000000046F8: BF8407AF
	s_waitcnt vmcnt(10)                                        // 0000000046FC: BF8C0F7A
	v_mfma_f32_16x16x32_fp8_fp8 v[16:19], a[0:1], v[8:9], 0    // 000000004700: D3F30010 0A021100
	s_add_u32 s12, s76, s63                                    // 000000004708: 800C3F4C
	s_addc_u32 s13, s77, 0                                     // 00000000470C: 820D804D
	v_mfma_f32_16x16x32_fp8_fp8 v[16:19], a[2:3], v[10:11], v[16:19]// 000000004710: D3F30010 0C421502
	buffer_load_dwordx4 a[32:35], v108, s[12:15], 0 offen      // 000000004718: E05C1000 8083206C
	v_mfma_f32_16x16x32_fp8_fp8 v[16:19], a[4:5], v[12:13], v[16:19]// 000000004720: D3F30010 0C421904
	s_add_u32 s16, s78, s64                                    // 000000004728: 8010404E
	s_addc_u32 s17, s79, 0                                     // 00000000472C: 8211804F
	v_mfma_f32_16x16x32_fp8_fp8 v[16:19], a[6:7], v[14:15], v[16:19]// 000000004730: D3F30010 0C421D06
	s_add_u32 s28, s80, s65                                    // 000000004738: 801C4150
	s_addc_u32 s29, s81, 0                                     // 00000000473C: 821D8051
	v_mfma_f32_16x16x32_fp8_fp8 v[20:23], a[8:9], v[8:9], 0    // 000000004740: D3F30014 0A021108
	s_add_u32 s32, s82, s65                                    // 000000004748: 80204152
	s_addc_u32 s33, s83, 0                                     // 00000000474C: 82218053
	v_mfma_f32_16x16x32_fp8_fp8 v[20:23], a[10:11], v[10:11], v[20:23]// 000000004750: D3F30014 0C52150A
	buffer_load_dwordx4 a[36:39], v109, s[12:15], 0 offen      // 000000004758: E05C1000 8083246D
	v_mfma_f32_16x16x32_fp8_fp8 v[20:23], a[12:13], v[12:13], v[20:23]// 000000004760: D3F30014 0C52190C
	s_add_u32 s63, s63, 0x1000                                 // 000000004768: 803FFF3F 00001000
	s_add_u32 s64, s64, 0x8000                                 // 000000004770: 8040FF40 00008000
	v_mfma_f32_16x16x32_fp8_fp8 v[20:23], a[14:15], v[14:15], v[20:23]// 000000004778: D3F30014 0C521D0E
	s_add_u32 s65, s65, 0x400                                  // 000000004780: 8041FF41 00000400
	v_mfma_f32_16x16x32_fp8_fp8 v[24:27], a[16:17], v[8:9], 0  // 000000004788: D3F30018 0A021110
	v_mfma_f32_16x16x32_fp8_fp8 v[24:27], a[18:19], v[10:11], v[24:27]// 000000004790: D3F30018 0C621512
	buffer_load_dwordx4 a[40:43], v108, s[12:15], 0 offen offset:1024// 000000004798: E05C1400 8083286C
	v_mfma_f32_16x16x32_fp8_fp8 v[24:27], a[20:21], v[12:13], v[24:27]// 0000000047A0: D3F30018 0C621914
	v_mfma_f32_16x16x32_fp8_fp8 v[24:27], a[22:23], v[14:15], v[24:27]// 0000000047A8: D3F30018 0C621D16
	v_mfma_f32_16x16x32_fp8_fp8 v[28:31], a[24:25], v[8:9], 0  // 0000000047B0: D3F3001C 0A021118
	v_mfma_f32_16x16x32_fp8_fp8 v[28:31], a[26:27], v[10:11], v[28:31]// 0000000047B8: D3F3001C 0C72151A
	buffer_load_dwordx4 a[44:47], v109, s[12:15], 0 offen offset:1024// 0000000047C0: E05C1400 80832C6D
	v_mfma_f32_16x16x32_fp8_fp8 v[28:31], a[28:29], v[12:13], v[28:31]// 0000000047C8: D3F3001C 0C72191C
	v_mfma_f32_16x16x32_fp8_fp8 v[28:31], a[30:31], v[14:15], v[28:31]// 0000000047D0: D3F3001C 0C721D1E
	s_waitcnt vmcnt(12)                                        // 0000000047D8: BF8C0F7C
	v_pk_mul_f32 v[16:17], v[64:65], v[16:17]                  // 0000000047DC: D3B14010 18022140
	v_pk_mul_f32 v[18:19], v[64:65], v[18:19]                  // 0000000047E4: D3B14012 18022540
	v_mul_f32_dpp v16, v66, v16 row_newbcast:0 row_mask:0xf bank_mask:0xf// 0000000047EC: 0A2020FA FF015042
	v_mul_f32_dpp v17, v66, v17 row_newbcast:1 row_mask:0xf bank_mask:0xf// 0000000047F4: 0A2222FA FF015142
	v_mul_f32_dpp v18, v66, v18 row_newbcast:2 row_mask:0xf bank_mask:0xf// 0000000047FC: 0A2424FA FF015242
	v_mul_f32_dpp v19, v66, v19 row_newbcast:3 row_mask:0xf bank_mask:0xf// 000000004804: 0A2626FA FF015342
	v_pk_mul_f32 v[20:21], v[64:65], v[20:21]                  // 00000000480C: D3B14014 18022940
	v_pk_mul_f32 v[22:23], v[64:65], v[22:23]                  // 000000004814: D3B14016 18022D40
	v_mul_f32_dpp v20, v66, v20 row_newbcast:4 row_mask:0xf bank_mask:0xf// 00000000481C: 0A2828FA FF015442
	v_mul_f32_dpp v21, v66, v21 row_newbcast:5 row_mask:0xf bank_mask:0xf// 000000004824: 0A2A2AFA FF015542
	v_mul_f32_dpp v22, v66, v22 row_newbcast:6 row_mask:0xf bank_mask:0xf// 00000000482C: 0A2C2CFA FF015642
	v_mul_f32_dpp v23, v66, v23 row_newbcast:7 row_mask:0xf bank_mask:0xf// 000000004834: 0A2E2EFA FF015742
	v_pk_mul_f32 v[24:25], v[64:65], v[24:25]                  // 00000000483C: D3B14018 18023140
	v_pk_mul_f32 v[26:27], v[64:65], v[26:27]                  // 000000004844: D3B1401A 18023540
	v_mul_f32_dpp v24, v66, v24 row_newbcast:8 row_mask:0xf bank_mask:0xf// 00000000484C: 0A3030FA FF015842
	v_mul_f32_dpp v25, v66, v25 row_newbcast:9 row_mask:0xf bank_mask:0xf// 000000004854: 0A3232FA FF015942
	v_mul_f32_dpp v26, v66, v26 row_newbcast:10 row_mask:0xf bank_mask:0xf// 00000000485C: 0A3434FA FF015A42
	v_mul_f32_dpp v27, v66, v27 row_newbcast:11 row_mask:0xf bank_mask:0xf// 000000004864: 0A3636FA FF015B42
	v_pk_mul_f32 v[28:29], v[64:65], v[28:29]                  // 00000000486C: D3B1401C 18023940
	v_pk_mul_f32 v[30:31], v[64:65], v[30:31]                  // 000000004874: D3B1401E 18023D40
	v_mul_f32_dpp v28, v66, v28 row_newbcast:12 row_mask:0xf bank_mask:0xf// 00000000487C: 0A3838FA FF015C42
	v_mul_f32_dpp v29, v66, v29 row_newbcast:13 row_mask:0xf bank_mask:0xf// 000000004884: 0A3A3AFA FF015D42
	v_mul_f32_dpp v30, v66, v30 row_newbcast:14 row_mask:0xf bank_mask:0xf// 00000000488C: 0A3C3CFA FF015E42
	v_mul_f32_dpp v31, v66, v31 row_newbcast:15 row_mask:0xf bank_mask:0xf// 000000004894: 0A3E3EFA FF015F42
	buffer_load_dwordx4 a[48:51], v108, s[12:15], 0 offen offset:2048// 00000000489C: E05C1800 8083306C
	v_mov_b32_e32 v92, v16                                     // 0000000048A4: 7EB80310
	v_max3_f32 v92, v16, v17, v92                              // 0000000048A8: D1D3005C 05722310
	v_max3_f32 v92, v18, v19, v92                              // 0000000048B0: D1D3005C 05722712
	v_max3_f32 v92, v20, v21, v92                              // 0000000048B8: D1D3005C 05722B14
	v_max3_f32 v92, v22, v23, v92                              // 0000000048C0: D1D3005C 05722F16
	v_max3_f32 v92, v24, v25, v92                              // 0000000048C8: D1D3005C 05723318
	v_max3_f32 v92, v26, v27, v92                              // 0000000048D0: D1D3005C 0572371A
	v_max3_f32 v92, v28, v29, v92                              // 0000000048D8: D1D3005C 05723B1C
	v_max3_f32 v92, v30, v31, v92                              // 0000000048E0: D1D3005C 05723F1E
	ds_write_b32 v122, v92                                     // 0000000048E8: D81A0000 00005C7A
	v_pk_mul_f32 v[56:57], v[94:95], v[56:57]                  // 0000000048F0: D3B14038 1802715E
	v_pk_mul_f32 v[58:59], v[94:95], v[58:59]                  // 0000000048F8: D3B1403A 1802755E
	v_pk_mul_f32 v[60:61], v[94:95], v[60:61]                  // 000000004900: D3B1403C 1802795E
	v_pk_mul_f32 v[62:63], v[94:95], v[62:63]                  // 000000004908: D3B1403E 18027D5E
	buffer_load_dwordx4 a[52:55], v109, s[12:15], 0 offen offset:2048// 000000004910: E05C1800 8083346D
	s_waitcnt lgkmcnt(0)                                       // 000000004918: BF8CC07F
	s_barrier                                                  // 00000000491C: BF8A0000
	v_pk_mul_f32 v[48:49], v[70:71], v[48:49]                  // 000000004920: D3B14030 18026146
	v_pk_mul_f32 v[50:51], v[70:71], v[50:51]                  // 000000004928: D3B14032 18026546
	v_pk_mul_f32 v[52:53], v[70:71], v[52:53]                  // 000000004930: D3B14034 18026946
	v_pk_mul_f32 v[54:55], v[70:71], v[54:55]                  // 000000004938: D3B14036 18026D46
	buffer_load_dwordx4 a[56:59], v108, s[12:15], 0 offen offset:3072// 000000004940: E05C1C00 8083386C
	ds_read_b32 v76, v123                                      // 000000004948: D86C0000 4C00007B
	ds_read_b32 v77, v123 offset:64                            // 000000004950: D86C0040 4D00007B
	ds_read_b32 v78, v123 offset:128                           // 000000004958: D86C0080 4E00007B
	ds_read_b32 v79, v123 offset:192                           // 000000004960: D86C00C0 4F00007B
	ds_read_b32 v80, v123 offset:256                           // 000000004968: D86C0100 5000007B
	ds_read_b32 v81, v123 offset:320                           // 000000004970: D86C0140 5100007B
	ds_read_b32 v82, v123 offset:384                           // 000000004978: D86C0180 5200007B
	ds_read_b32 v83, v123 offset:448                           // 000000004980: D86C01C0 5300007B
	ds_read_b32 v84, v123 offset:512                           // 000000004988: D86C0200 5400007B
	ds_read_b32 v85, v123 offset:576                           // 000000004990: D86C0240 5500007B
	ds_read_b32 v86, v123 offset:640                           // 000000004998: D86C0280 5600007B
	ds_read_b32 v87, v123 offset:704                           // 0000000049A0: D86C02C0 5700007B
	ds_read_b32 v88, v123 offset:768                           // 0000000049A8: D86C0300 5800007B
	ds_read_b32 v89, v123 offset:832                           // 0000000049B0: D86C0340 5900007B
	ds_read_b32 v90, v123 offset:896                           // 0000000049B8: D86C0380 5A00007B
	ds_read_b32 v91, v123 offset:960                           // 0000000049C0: D86C03C0 5B00007B
	buffer_load_dwordx4 a[60:63], v109, s[12:15], 0 offen offset:3072// 0000000049C8: E05C1C00 80833C6D
	s_waitcnt lgkmcnt(0)                                       // 0000000049D0: BF8CC07F
	v_max3_f32 v92, v76, v77, v92                              // 0000000049D4: D1D3005C 05729B4C
	v_max3_f32 v92, v78, v79, v92                              // 0000000049DC: D1D3005C 05729F4E
	v_max3_f32 v92, v80, v81, v92                              // 0000000049E4: D1D3005C 0572A350
	v_max3_f32 v92, v82, v83, v92                              // 0000000049EC: D1D3005C 0572A752
	v_max3_f32 v92, v84, v85, v92                              // 0000000049F4: D1D3005C 0572AB54
	v_max3_f32 v92, v86, v87, v92                              // 0000000049FC: D1D3005C 0572AF56
	v_max3_f32 v92, v88, v89, v92                              // 000000004A04: D1D3005C 0572B358
	v_max3_f32 v92, v90, v91, v92                              // 000000004A0C: D1D3005C 0572B75A
	v_max_f32_e32 v97, v92, v96                                // 000000004A14: 16C2C15C
	v_mul_f32_e64 v72, -s51, v97                               // 000000004A18: D1050048 2002C233
	v_mov_b32_e32 v73, v72                                     // 000000004A20: 7E920348
	v_pk_fma_f32 v[16:17], v[16:17], s[86:87], v[72:73]        // 000000004A24: D3B04010 1D20AD10
	v_pk_fma_f32 v[18:19], v[18:19], s[86:87], v[72:73]        // 000000004A2C: D3B04012 1D20AD12
	v_exp_f32_e32 v16, v16                                     // 000000004A34: 7E204110
	v_exp_f32_e32 v17, v17                                     // 000000004A38: 7E224111
	v_exp_f32_e32 v18, v18                                     // 000000004A3C: 7E244112
	v_exp_f32_e32 v19, v19                                     // 000000004A40: 7E264113
	v_pk_fma_f32 v[20:21], v[20:21], s[86:87], v[72:73]        // 000000004A44: D3B04014 1D20AD14
	v_pk_fma_f32 v[22:23], v[22:23], s[86:87], v[72:73]        // 000000004A4C: D3B04016 1D20AD16
	v_exp_f32_e32 v20, v20                                     // 000000004A54: 7E284114
	v_exp_f32_e32 v21, v21                                     // 000000004A58: 7E2A4115
	v_exp_f32_e32 v22, v22                                     // 000000004A5C: 7E2C4116
	v_exp_f32_e32 v23, v23                                     // 000000004A60: 7E2E4117
	v_pk_fma_f32 v[24:25], v[24:25], s[86:87], v[72:73]        // 000000004A64: D3B04018 1D20AD18
	v_pk_fma_f32 v[26:27], v[26:27], s[86:87], v[72:73]        // 000000004A6C: D3B0401A 1D20AD1A
	v_exp_f32_e32 v24, v24                                     // 000000004A74: 7E304118
	v_exp_f32_e32 v25, v25                                     // 000000004A78: 7E324119
	v_exp_f32_e32 v26, v26                                     // 000000004A7C: 7E34411A
	v_exp_f32_e32 v27, v27                                     // 000000004A80: 7E36411B
	v_pk_fma_f32 v[28:29], v[28:29], s[86:87], v[72:73]        // 000000004A84: D3B0401C 1D20AD1C
	v_pk_fma_f32 v[30:31], v[30:31], s[86:87], v[72:73]        // 000000004A8C: D3B0401E 1D20AD1E
	v_exp_f32_e32 v28, v28                                     // 000000004A94: 7E38411C
	v_exp_f32_e32 v29, v29                                     // 000000004A98: 7E3A411D
	v_exp_f32_e32 v30, v30                                     // 000000004A9C: 7E3C411E
	v_exp_f32_e32 v31, v31                                     // 000000004AA0: 7E3E411F
	v_mul_f32_dpp v32, v68, v16 row_newbcast:0 row_mask:0xf bank_mask:0xf// 000000004AA4: 0A4020FA FF015044
	v_mul_f32_dpp v33, v68, v17 row_newbcast:1 row_mask:0xf bank_mask:0xf// 000000004AAC: 0A4222FA FF015144
	v_mul_f32_dpp v34, v68, v18 row_newbcast:2 row_mask:0xf bank_mask:0xf// 000000004AB4: 0A4424FA FF015244
	v_mul_f32_dpp v35, v68, v19 row_newbcast:3 row_mask:0xf bank_mask:0xf// 000000004ABC: 0A4626FA FF015344
	v_mul_f32_dpp v36, v68, v20 row_newbcast:4 row_mask:0xf bank_mask:0xf// 000000004AC4: 0A4828FA FF015444
	v_mul_f32_dpp v37, v68, v21 row_newbcast:5 row_mask:0xf bank_mask:0xf// 000000004ACC: 0A4A2AFA FF015544
	v_mul_f32_dpp v38, v68, v22 row_newbcast:6 row_mask:0xf bank_mask:0xf// 000000004AD4: 0A4C2CFA FF015644
	v_mul_f32_dpp v39, v68, v23 row_newbcast:7 row_mask:0xf bank_mask:0xf// 000000004ADC: 0A4E2EFA FF015744
	v_mul_f32_dpp v40, v68, v24 row_newbcast:8 row_mask:0xf bank_mask:0xf// 000000004AE4: 0A5030FA FF015844
	v_mul_f32_dpp v41, v68, v25 row_newbcast:9 row_mask:0xf bank_mask:0xf// 000000004AEC: 0A5232FA FF015944
	v_mul_f32_dpp v42, v68, v26 row_newbcast:10 row_mask:0xf bank_mask:0xf// 000000004AF4: 0A5434FA FF015A44
	v_mul_f32_dpp v43, v68, v27 row_newbcast:11 row_mask:0xf bank_mask:0xf// 000000004AFC: 0A5636FA FF015B44
	v_mul_f32_dpp v44, v68, v28 row_newbcast:12 row_mask:0xf bank_mask:0xf// 000000004B04: 0A5838FA FF015C44
	v_mul_f32_dpp v45, v68, v29 row_newbcast:13 row_mask:0xf bank_mask:0xf// 000000004B0C: 0A5A3AFA FF015D44
	v_mul_f32_dpp v46, v68, v30 row_newbcast:14 row_mask:0xf bank_mask:0xf// 000000004B14: 0A5C3CFA FF015E44
	v_mul_f32_dpp v47, v68, v31 row_newbcast:15 row_mask:0xf bank_mask:0xf// 000000004B1C: 0A5E3EFA FF015F44
	v_mov_b32_e32 v92, 0x358637bd                              // 000000004B24: 7EB802FF 358637BD
	v_max3_f32 v92, |v32|, |v33|, v92                          // 000000004B2C: D1D3035C 05724320
	v_max3_f32 v92, |v34|, |v35|, v92                          // 000000004B34: D1D3035C 05724722
	v_max3_f32 v92, |v36|, |v37|, v92                          // 000000004B3C: D1D3035C 05724B24
	v_max3_f32 v92, |v38|, |v39|, v92                          // 000000004B44: D1D3035C 05724F26
	v_max3_f32 v92, |v40|, |v41|, v92                          // 000000004B4C: D1D3035C 05725328
	v_max3_f32 v92, |v42|, |v43|, v92                          // 000000004B54: D1D3035C 0572572A
	v_max3_f32 v92, |v44|, |v45|, v92                          // 000000004B5C: D1D3035C 05725B2C
	v_max3_f32 v92, |v46|, |v47|, v92                          // 000000004B64: D1D3035C 05725F2E
	ds_write_b32 v122, v92 offset:1280                         // 000000004B6C: D81A0500 00005C7A
	buffer_load_dword v67, v114, s[28:31], 0 offen             // 000000004B74: E0501000 80074372
	v_sub_f32_e32 v94, v96, v97                                // 000000004B7C: 04BCC360
	v_cmp_eq_u32_e64 s[84:85], v105, v96                       // 000000004B80: D0CA0054 0002C169
	s_nop 0                                                    // 000000004B88: BF800000
	v_cndmask_b32_e64 v94, v94, 0, s[84:85]                    // 000000004B8C: D100005E 0151015E
	v_mov_b32_e32 v96, v97                                     // 000000004B94: 7EC00361
	v_mul_f32_e32 v94, s51, v94                                // 000000004B98: 0ABCBC33
	v_exp_f32_e32 v94, v94                                     // 000000004B9C: 7EBC415E
	s_nop 0                                                    // 000000004BA0: BF800000
	v_mov_b32_e32 v95, v94                                     // 000000004BA4: 7EBE035E
	buffer_load_dword v69, v115, s[32:35], 0 offen             // 000000004BA8: E0501000 80084573
	s_waitcnt lgkmcnt(0)                                       // 000000004BB0: BF8CC07F
	s_barrier                                                  // 000000004BB4: BF8A0000
	v_mul_f32_e32 v98, v94, v98                                // 000000004BB8: 0AC4C55E
	v_add_f32_e32 v98, v16, v98                                // 000000004BBC: 02C4C510
	v_add_f32_e32 v98, v17, v98                                // 000000004BC0: 02C4C511
	v_add_f32_e32 v98, v18, v98                                // 000000004BC4: 02C4C512
	v_add_f32_e32 v98, v19, v98                                // 000000004BC8: 02C4C513
	v_add_f32_e32 v98, v20, v98                                // 000000004BCC: 02C4C514
	v_add_f32_e32 v98, v21, v98                                // 000000004BD0: 02C4C515
	v_add_f32_e32 v98, v22, v98                                // 000000004BD4: 02C4C516
	v_add_f32_e32 v98, v23, v98                                // 000000004BD8: 02C4C517
	v_add_f32_e32 v98, v24, v98                                // 000000004BDC: 02C4C518
	v_add_f32_e32 v98, v25, v98                                // 000000004BE0: 02C4C519
	v_add_f32_e32 v98, v26, v98                                // 000000004BE4: 02C4C51A
	v_add_f32_e32 v98, v27, v98                                // 000000004BE8: 02C4C51B
	v_add_f32_e32 v98, v28, v98                                // 000000004BEC: 02C4C51C
	v_add_f32_e32 v98, v29, v98                                // 000000004BF0: 02C4C51D
	v_add_f32_e32 v98, v30, v98                                // 000000004BF4: 02C4C51E
	v_add_f32_e32 v98, v31, v98                                // 000000004BF8: 02C4C51F
	buffer_load_dwordx4 a[100:103], v111, s[16:19], 0 offen    // 000000004BFC: E05C1000 8084646F
	ds_read_b32 v76, v123 offset:1280                          // 000000004C04: D86C0500 4C00007B
	ds_read_b32 v77, v123 offset:1344                          // 000000004C0C: D86C0540 4D00007B
	ds_read_b32 v78, v123 offset:1408                          // 000000004C14: D86C0580 4E00007B
	ds_read_b32 v79, v123 offset:1472                          // 000000004C1C: D86C05C0 4F00007B
	ds_read_b32 v80, v123 offset:1536                          // 000000004C24: D86C0600 5000007B
	ds_read_b32 v81, v123 offset:1600                          // 000000004C2C: D86C0640 5100007B
	ds_read_b32 v82, v123 offset:1664                          // 000000004C34: D86C0680 5200007B
	ds_read_b32 v83, v123 offset:1728                          // 000000004C3C: D86C06C0 5300007B
	ds_read_b32 v84, v123 offset:1792                          // 000000004C44: D86C0700 5400007B
	ds_read_b32 v85, v123 offset:1856                          // 000000004C4C: D86C0740 5500007B
	ds_read_b32 v86, v123 offset:1920                          // 000000004C54: D86C0780 5600007B
	ds_read_b32 v87, v123 offset:1984                          // 000000004C5C: D86C07C0 5700007B
	ds_read_b32 v88, v123 offset:2048                          // 000000004C64: D86C0800 5800007B
	ds_read_b32 v89, v123 offset:2112                          // 000000004C6C: D86C0840 5900007B
	ds_read_b32 v90, v123 offset:2176                          // 000000004C74: D86C0880 5A00007B
	ds_read_b32 v91, v123 offset:2240                          // 000000004C7C: D86C08C0 5B00007B
	buffer_load_dwordx4 a[96:99], v110, s[16:19], 0 offen      // 000000004C84: E05C1000 8084606E
	s_waitcnt lgkmcnt(0)                                       // 000000004C8C: BF8CC07F
	v_max3_f32 v92, v76, v77, v92                              // 000000004C90: D1D3005C 05729B4C
	v_max3_f32 v92, v78, v79, v92                              // 000000004C98: D1D3005C 05729F4E
	v_max3_f32 v92, v80, v81, v92                              // 000000004CA0: D1D3005C 0572A350
	v_max3_f32 v92, v82, v83, v92                              // 000000004CA8: D1D3005C 0572A752
	v_max3_f32 v92, v84, v85, v92                              // 000000004CB0: D1D3005C 0572AB54
	v_max3_f32 v92, v86, v87, v92                              // 000000004CB8: D1D3005C 0572AF56
	v_max3_f32 v92, v88, v89, v92                              // 000000004CC0: D1D3005C 0572B358
	v_max3_f32 v92, v90, v91, v92                              // 000000004CC8: D1D3005C 0572B75A
	v_rcp_f32_e32 v92, v92                                     // 000000004CD0: 7EB8455C
	s_nop 0                                                    // 000000004CD4: BF800000
	v_mul_f32_e32 v92, 0x43700000, v92                         // 000000004CD8: 0AB8B8FF 43700000
	v_mov_b32_e32 v93, v92                                     // 000000004CE0: 7EBA035C
	v_pk_mul_f32 v[16:17], v[92:93], v[32:33]                  // 000000004CE4: D3B14010 1802415C
	v_pk_mul_f32 v[18:19], v[92:93], v[34:35]                  // 000000004CEC: D3B14012 1802455C
	v_pk_mul_f32 v[20:21], v[92:93], v[36:37]                  // 000000004CF4: D3B14014 1802495C
	v_pk_mul_f32 v[22:23], v[92:93], v[38:39]                  // 000000004CFC: D3B14016 18024D5C
	v_pk_mul_f32 v[24:25], v[92:93], v[40:41]                  // 000000004D04: D3B14018 1802515C
	v_pk_mul_f32 v[26:27], v[92:93], v[42:43]                  // 000000004D0C: D3B1401A 1802555C
	v_pk_mul_f32 v[28:29], v[92:93], v[44:45]                  // 000000004D14: D3B1401C 1802595C
	v_pk_mul_f32 v[30:31], v[92:93], v[46:47]                  // 000000004D1C: D3B1401E 18025D5C
	v_cvt_pk_fp8_f32 v16, v16, v17                             // 000000004D24: D2A20010 00022310
	v_cvt_pk_fp8_f32 v16, v18, v19 op_sel:[0,0,1]              // 000000004D2C: D2A24010 00022712
	v_cvt_pk_fp8_f32 v17, v20, v21                             // 000000004D34: D2A20011 00022B14
	v_cvt_pk_fp8_f32 v17, v22, v23 op_sel:[0,0,1]              // 000000004D3C: D2A24011 00022F16
	v_cvt_pk_fp8_f32 v18, v24, v25                             // 000000004D44: D2A20012 00023318
	v_cvt_pk_fp8_f32 v18, v26, v27 op_sel:[0,0,1]              // 000000004D4C: D2A24012 0002371A
	v_cvt_pk_fp8_f32 v19, v28, v29                             // 000000004D54: D2A20013 00023B1C
	v_cvt_pk_fp8_f32 v19, v30, v31 op_sel:[0,0,1]              // 000000004D5C: D2A24013 00023F1E
	ds_write_b32 v124, v16 offset:2560                         // 000000004D64: D81A0A00 0000107C
	ds_write_b32 v124, v17 offset:3584                         // 000000004D6C: D81A0E00 0000117C
	ds_write_b32 v124, v18 offset:4608                         // 000000004D74: D81A1200 0000127C
	ds_write_b32 v124, v19 offset:5632                         // 000000004D7C: D81A1600 0000137C
	v_rcp_f32_e32 v70, v92                                     // 000000004D84: 7E8C455C
	s_nop 0                                                    // 000000004D88: BF800000
	v_mov_b32_e32 v71, v70                                     // 000000004D8C: 7E8E0346
	buffer_load_dwordx4 a[104:107], v112, s[16:19], 0 offen    // 000000004D90: E05C1000 80846870
	v_pk_add_f32 v[56:57], v[56:57], v[48:49]                  // 000000004D98: D3B24038 18026138
	v_pk_add_f32 v[58:59], v[58:59], v[50:51]                  // 000000004DA0: D3B2403A 1802653A
	v_pk_add_f32 v[60:61], v[60:61], v[52:53]                  // 000000004DA8: D3B2403C 1802693C
	v_pk_add_f32 v[62:63], v[62:63], v[54:55]                  // 000000004DB0: D3B2403E 18026D3E
	s_waitcnt lgkmcnt(0)                                       // 000000004DB8: BF8CC07F
	s_barrier                                                  // 000000004DBC: BF8A0000
	ds_read_b128 v[16:19], v125 offset:2560                    // 000000004DC0: D9FE0A00 1000007D
	ds_read_b128 v[20:23], v125 offset:3584                    // 000000004DC8: D9FE0E00 1400007D
	ds_read_b128 v[24:27], v125 offset:4608                    // 000000004DD0: D9FE1200 1800007D
	ds_read_b128 v[28:31], v125 offset:5632                    // 000000004DD8: D9FE1600 1C00007D
	buffer_load_dwordx4 a[108:111], v113, s[16:19], 0 offen    // 000000004DE0: E05C1000 80846C71
	s_waitcnt vmcnt(14)                                        // 000000004DE8: BF8C0F7E
	s_waitcnt lgkmcnt(3)                                       // 000000004DEC: BF8CC37F
	v_mfma_f32_16x16x32_fp8_fp8 v[48:51], a[64:65], v[16:17], 0// 000000004DF0: D3F30030 0A022140
	s_addk_i32 s61, 0x1                                        // 000000004DF8: B73D0001
	v_mfma_f32_16x16x32_fp8_fp8 v[52:55], a[80:81], v[16:17], 0// 000000004DFC: D3F30034 0A022150
	s_cmp_lt_u32 s61, s52                                      // 000000004E04: BF0A343D
	s_cselect_b32 s62, 4, 0                                    // 000000004E08: 853E8084
	v_mfma_f32_16x16x32_fp8_fp8 v[48:51], a[66:67], v[18:19], v[48:51]// 000000004E0C: D3F30030 0CC22542
	s_add_u32 s20, s20, s62                                    // 000000004E14: 80143E14
	s_addc_u32 s21, s21, 0                                     // 000000004E18: 82158015
	v_mfma_f32_16x16x32_fp8_fp8 v[52:55], a[82:83], v[18:19], v[52:55]// 000000004E1C: D3F30034 0CD22552
	buffer_load_dwordx4 a[112:115], v110, s[16:19], 0 offen offset:1024// 000000004E24: E05C1400 8084706E
	s_waitcnt lgkmcnt(2)                                       // 000000004E2C: BF8CC27F
	v_mfma_f32_16x16x32_fp8_fp8 v[48:51], a[68:69], v[20:21], v[48:51]// 000000004E30: D3F30030 0CC22944
	v_mfma_f32_16x16x32_fp8_fp8 v[52:55], a[84:85], v[20:21], v[52:55]// 000000004E38: D3F30034 0CD22954
	v_mfma_f32_16x16x32_fp8_fp8 v[48:51], a[70:71], v[22:23], v[48:51]// 000000004E40: D3F30030 0CC22D46
	v_mfma_f32_16x16x32_fp8_fp8 v[52:55], a[86:87], v[22:23], v[52:55]// 000000004E48: D3F30034 0CD22D56
	buffer_load_dwordx4 a[116:119], v111, s[16:19], 0 offen offset:1024// 000000004E50: E05C1400 8084746F
	s_waitcnt lgkmcnt(1)                                       // 000000004E58: BF8CC17F
	v_mfma_f32_16x16x32_fp8_fp8 v[48:51], a[72:73], v[24:25], v[48:51]// 000000004E5C: D3F30030 0CC23148
	v_mfma_f32_16x16x32_fp8_fp8 v[52:55], a[88:89], v[24:25], v[52:55]// 000000004E64: D3F30034 0CD23158
	v_mfma_f32_16x16x32_fp8_fp8 v[48:51], a[74:75], v[26:27], v[48:51]// 000000004E6C: D3F30030 0CC2354A
	v_mfma_f32_16x16x32_fp8_fp8 v[52:55], a[90:91], v[26:27], v[52:55]// 000000004E74: D3F30034 0CD2355A
	buffer_load_dwordx4 a[120:123], v112, s[16:19], 0 offen offset:1024// 000000004E7C: E05C1400 80847870
	s_waitcnt lgkmcnt(0)                                       // 000000004E84: BF8CC07F
	v_mfma_f32_16x16x32_fp8_fp8 v[48:51], a[76:77], v[28:29], v[48:51]// 000000004E88: D3F30030 0CC2394C
	v_mfma_f32_16x16x32_fp8_fp8 v[52:55], a[92:93], v[28:29], v[52:55]// 000000004E90: D3F30034 0CD2395C
	v_mfma_f32_16x16x32_fp8_fp8 v[48:51], a[78:79], v[30:31], v[48:51]// 000000004E98: D3F30030 0CC23D4E
	v_mfma_f32_16x16x32_fp8_fp8 v[52:55], a[94:95], v[30:31], v[52:55]// 000000004EA0: D3F30034 0CD23D5E
	buffer_load_dwordx4 a[124:127], v113, s[16:19], 0 offen offset:1024// 000000004EA8: E05C1400 80847C71
	s_load_dword s60, s[20:21], 0x0                            // 000000004EB0: C0020F0A 00000000
	s_addk_i32 s49, 0x100                                      // 000000004EB8: B7310100
	s_cmp_lt_i32 s49, s50                                      // 000000004EBC: BF043231
	s_cbranch_scc0 label_1351                                  // 000000004EC0: BF8407E0
	s_waitcnt vmcnt(10)                                        // 000000004EC4: BF8C0F7A
	v_mfma_f32_16x16x32_fp8_fp8 v[16:19], a[32:33], v[8:9], 0  // 000000004EC8: D3F30010 0A021120
	s_add_u32 s12, s76, s63                                    // 000000004ED0: 800C3F4C
	s_addc_u32 s13, s77, 0                                     // 000000004ED4: 820D804D
	v_mfma_f32_16x16x32_fp8_fp8 v[16:19], a[34:35], v[10:11], v[16:19]// 000000004ED8: D3F30010 0C421522
	buffer_load_dwordx4 a[0:3], v108, s[12:15], 0 offen        // 000000004EE0: E05C1000 8083006C
	v_mfma_f32_16x16x32_fp8_fp8 v[16:19], a[36:37], v[12:13], v[16:19]// 000000004EE8: D3F30010 0C421924
	s_add_u32 s16, s78, s64                                    // 000000004EF0: 8010404E
	s_addc_u32 s17, s79, 0                                     // 000000004EF4: 8211804F
	v_mfma_f32_16x16x32_fp8_fp8 v[16:19], a[38:39], v[14:15], v[16:19]// 000000004EF8: D3F30010 0C421D26
	s_add_u32 s28, s80, s65                                    // 000000004F00: 801C4150
	s_addc_u32 s29, s81, 0                                     // 000000004F04: 821D8051
	v_mfma_f32_16x16x32_fp8_fp8 v[20:23], a[40:41], v[8:9], 0  // 000000004F08: D3F30014 0A021128
	s_add_u32 s32, s82, s65                                    // 000000004F10: 80204152
	s_addc_u32 s33, s83, 0                                     // 000000004F14: 82218053
	v_mfma_f32_16x16x32_fp8_fp8 v[20:23], a[42:43], v[10:11], v[20:23]// 000000004F18: D3F30014 0C52152A
	buffer_load_dwordx4 a[4:7], v109, s[12:15], 0 offen        // 000000004F20: E05C1000 8083046D
	v_mfma_f32_16x16x32_fp8_fp8 v[20:23], a[44:45], v[12:13], v[20:23]// 000000004F28: D3F30014 0C52192C
	s_add_u32 s63, s63, 0x1000                                 // 000000004F30: 803FFF3F 00001000
	s_add_u32 s64, s64, 0x8000                                 // 000000004F38: 8040FF40 00008000
	v_mfma_f32_16x16x32_fp8_fp8 v[20:23], a[46:47], v[14:15], v[20:23]// 000000004F40: D3F30014 0C521D2E
	s_add_u32 s65, s65, 0x400                                  // 000000004F48: 8041FF41 00000400
	v_mfma_f32_16x16x32_fp8_fp8 v[24:27], a[48:49], v[8:9], 0  // 000000004F50: D3F30018 0A021130
	v_mfma_f32_16x16x32_fp8_fp8 v[24:27], a[50:51], v[10:11], v[24:27]// 000000004F58: D3F30018 0C621532
	buffer_load_dwordx4 a[8:11], v108, s[12:15], 0 offen offset:1024// 000000004F60: E05C1400 8083086C
	v_mfma_f32_16x16x32_fp8_fp8 v[24:27], a[52:53], v[12:13], v[24:27]// 000000004F68: D3F30018 0C621934
	v_mfma_f32_16x16x32_fp8_fp8 v[24:27], a[54:55], v[14:15], v[24:27]// 000000004F70: D3F30018 0C621D36
	v_mfma_f32_16x16x32_fp8_fp8 v[28:31], a[56:57], v[8:9], 0  // 000000004F78: D3F3001C 0A021138
	v_mfma_f32_16x16x32_fp8_fp8 v[28:31], a[58:59], v[10:11], v[28:31]// 000000004F80: D3F3001C 0C72153A
	buffer_load_dwordx4 a[12:15], v109, s[12:15], 0 offen offset:1024// 000000004F88: E05C1400 80830C6D
	v_mfma_f32_16x16x32_fp8_fp8 v[28:31], a[60:61], v[12:13], v[28:31]// 000000004F90: D3F3001C 0C72193C
	v_mfma_f32_16x16x32_fp8_fp8 v[28:31], a[62:63], v[14:15], v[28:31]// 000000004F98: D3F3001C 0C721D3E
	s_waitcnt vmcnt(12)                                        // 000000004FA0: BF8C0F7C
	v_pk_mul_f32 v[16:17], v[64:65], v[16:17]                  // 000000004FA4: D3B14010 18022140
	v_pk_mul_f32 v[18:19], v[64:65], v[18:19]                  // 000000004FAC: D3B14012 18022540
	v_mul_f32_dpp v16, v67, v16 row_newbcast:0 row_mask:0xf bank_mask:0xf// 000000004FB4: 0A2020FA FF015043
	v_mul_f32_dpp v17, v67, v17 row_newbcast:1 row_mask:0xf bank_mask:0xf// 000000004FBC: 0A2222FA FF015143
	v_mul_f32_dpp v18, v67, v18 row_newbcast:2 row_mask:0xf bank_mask:0xf// 000000004FC4: 0A2424FA FF015243
	v_mul_f32_dpp v19, v67, v19 row_newbcast:3 row_mask:0xf bank_mask:0xf// 000000004FCC: 0A2626FA FF015343
	v_pk_mul_f32 v[20:21], v[64:65], v[20:21]                  // 000000004FD4: D3B14014 18022940
	v_pk_mul_f32 v[22:23], v[64:65], v[22:23]                  // 000000004FDC: D3B14016 18022D40
	v_mul_f32_dpp v20, v67, v20 row_newbcast:4 row_mask:0xf bank_mask:0xf// 000000004FE4: 0A2828FA FF015443
	v_mul_f32_dpp v21, v67, v21 row_newbcast:5 row_mask:0xf bank_mask:0xf// 000000004FEC: 0A2A2AFA FF015543
	v_mul_f32_dpp v22, v67, v22 row_newbcast:6 row_mask:0xf bank_mask:0xf// 000000004FF4: 0A2C2CFA FF015643
	v_mul_f32_dpp v23, v67, v23 row_newbcast:7 row_mask:0xf bank_mask:0xf// 000000004FFC: 0A2E2EFA FF015743
	v_pk_mul_f32 v[24:25], v[64:65], v[24:25]                  // 000000005004: D3B14018 18023140
	v_pk_mul_f32 v[26:27], v[64:65], v[26:27]                  // 00000000500C: D3B1401A 18023540
	v_mul_f32_dpp v24, v67, v24 row_newbcast:8 row_mask:0xf bank_mask:0xf// 000000005014: 0A3030FA FF015843
	v_mul_f32_dpp v25, v67, v25 row_newbcast:9 row_mask:0xf bank_mask:0xf// 00000000501C: 0A3232FA FF015943
	v_mul_f32_dpp v26, v67, v26 row_newbcast:10 row_mask:0xf bank_mask:0xf// 000000005024: 0A3434FA FF015A43
	v_mul_f32_dpp v27, v67, v27 row_newbcast:11 row_mask:0xf bank_mask:0xf// 00000000502C: 0A3636FA FF015B43
	v_pk_mul_f32 v[28:29], v[64:65], v[28:29]                  // 000000005034: D3B1401C 18023940
	v_pk_mul_f32 v[30:31], v[64:65], v[30:31]                  // 00000000503C: D3B1401E 18023D40
	v_mul_f32_dpp v28, v67, v28 row_newbcast:12 row_mask:0xf bank_mask:0xf// 000000005044: 0A3838FA FF015C43
	v_mul_f32_dpp v29, v67, v29 row_newbcast:13 row_mask:0xf bank_mask:0xf// 00000000504C: 0A3A3AFA FF015D43
	v_mul_f32_dpp v30, v67, v30 row_newbcast:14 row_mask:0xf bank_mask:0xf// 000000005054: 0A3C3CFA FF015E43
	v_mul_f32_dpp v31, v67, v31 row_newbcast:15 row_mask:0xf bank_mask:0xf// 00000000505C: 0A3E3EFA FF015F43
	buffer_load_dwordx4 a[16:19], v108, s[12:15], 0 offen offset:2048// 000000005064: E05C1800 8083106C
	v_mov_b32_e32 v92, v16                                     // 00000000506C: 7EB80310
	v_max3_f32 v92, v16, v17, v92                              // 000000005070: D1D3005C 05722310
	v_max3_f32 v92, v18, v19, v92                              // 000000005078: D1D3005C 05722712
	v_max3_f32 v92, v20, v21, v92                              // 000000005080: D1D3005C 05722B14
	v_max3_f32 v92, v22, v23, v92                              // 000000005088: D1D3005C 05722F16
	v_max3_f32 v92, v24, v25, v92                              // 000000005090: D1D3005C 05723318
	v_max3_f32 v92, v26, v27, v92                              // 000000005098: D1D3005C 0572371A
	v_max3_f32 v92, v28, v29, v92                              // 0000000050A0: D1D3005C 05723B1C
	v_max3_f32 v92, v30, v31, v92                              // 0000000050A8: D1D3005C 05723F1E
	ds_write_b32 v122, v92                                     // 0000000050B0: D81A0000 00005C7A
	v_pk_mul_f32 v[56:57], v[94:95], v[56:57]                  // 0000000050B8: D3B14038 1802715E
	v_pk_mul_f32 v[58:59], v[94:95], v[58:59]                  // 0000000050C0: D3B1403A 1802755E
	v_pk_mul_f32 v[60:61], v[94:95], v[60:61]                  // 0000000050C8: D3B1403C 1802795E
	v_pk_mul_f32 v[62:63], v[94:95], v[62:63]                  // 0000000050D0: D3B1403E 18027D5E
	buffer_load_dwordx4 a[20:23], v109, s[12:15], 0 offen offset:2048// 0000000050D8: E05C1800 8083146D
	s_waitcnt lgkmcnt(0)                                       // 0000000050E0: BF8CC07F
	s_barrier                                                  // 0000000050E4: BF8A0000
	v_pk_mul_f32 v[48:49], v[70:71], v[48:49]                  // 0000000050E8: D3B14030 18026146
	v_pk_mul_f32 v[50:51], v[70:71], v[50:51]                  // 0000000050F0: D3B14032 18026546
	v_pk_mul_f32 v[52:53], v[70:71], v[52:53]                  // 0000000050F8: D3B14034 18026946
	v_pk_mul_f32 v[54:55], v[70:71], v[54:55]                  // 000000005100: D3B14036 18026D46
	buffer_load_dwordx4 a[24:27], v108, s[12:15], 0 offen offset:3072// 000000005108: E05C1C00 8083186C
	ds_read_b32 v76, v123                                      // 000000005110: D86C0000 4C00007B
	ds_read_b32 v77, v123 offset:64                            // 000000005118: D86C0040 4D00007B
	ds_read_b32 v78, v123 offset:128                           // 000000005120: D86C0080 4E00007B
	ds_read_b32 v79, v123 offset:192                           // 000000005128: D86C00C0 4F00007B
	ds_read_b32 v80, v123 offset:256                           // 000000005130: D86C0100 5000007B
	ds_read_b32 v81, v123 offset:320                           // 000000005138: D86C0140 5100007B
	ds_read_b32 v82, v123 offset:384                           // 000000005140: D86C0180 5200007B
	ds_read_b32 v83, v123 offset:448                           // 000000005148: D86C01C0 5300007B
	ds_read_b32 v84, v123 offset:512                           // 000000005150: D86C0200 5400007B
	ds_read_b32 v85, v123 offset:576                           // 000000005158: D86C0240 5500007B
	ds_read_b32 v86, v123 offset:640                           // 000000005160: D86C0280 5600007B
	ds_read_b32 v87, v123 offset:704                           // 000000005168: D86C02C0 5700007B
	ds_read_b32 v88, v123 offset:768                           // 000000005170: D86C0300 5800007B
	ds_read_b32 v89, v123 offset:832                           // 000000005178: D86C0340 5900007B
	ds_read_b32 v90, v123 offset:896                           // 000000005180: D86C0380 5A00007B
	ds_read_b32 v91, v123 offset:960                           // 000000005188: D86C03C0 5B00007B
	buffer_load_dwordx4 a[28:31], v109, s[12:15], 0 offen offset:3072// 000000005190: E05C1C00 80831C6D
	s_waitcnt lgkmcnt(0)                                       // 000000005198: BF8CC07F
	v_max3_f32 v92, v76, v77, v92                              // 00000000519C: D1D3005C 05729B4C
	v_max3_f32 v92, v78, v79, v92                              // 0000000051A4: D1D3005C 05729F4E
	v_max3_f32 v92, v80, v81, v92                              // 0000000051AC: D1D3005C 0572A350
	v_max3_f32 v92, v82, v83, v92                              // 0000000051B4: D1D3005C 0572A752
	v_max3_f32 v92, v84, v85, v92                              // 0000000051BC: D1D3005C 0572AB54
	v_max3_f32 v92, v86, v87, v92                              // 0000000051C4: D1D3005C 0572AF56
	v_max3_f32 v92, v88, v89, v92                              // 0000000051CC: D1D3005C 0572B358
	v_max3_f32 v92, v90, v91, v92                              // 0000000051D4: D1D3005C 0572B75A
	v_max_f32_e32 v97, v92, v96                                // 0000000051DC: 16C2C15C
	v_mul_f32_e64 v72, -s51, v97                               // 0000000051E0: D1050048 2002C233
	v_mov_b32_e32 v73, v72                                     // 0000000051E8: 7E920348
	v_pk_fma_f32 v[16:17], v[16:17], s[86:87], v[72:73]        // 0000000051EC: D3B04010 1D20AD10
	v_pk_fma_f32 v[18:19], v[18:19], s[86:87], v[72:73]        // 0000000051F4: D3B04012 1D20AD12
	v_exp_f32_e32 v16, v16                                     // 0000000051FC: 7E204110
	v_exp_f32_e32 v17, v17                                     // 000000005200: 7E224111
	v_exp_f32_e32 v18, v18                                     // 000000005204: 7E244112
	v_exp_f32_e32 v19, v19                                     // 000000005208: 7E264113
	v_pk_fma_f32 v[20:21], v[20:21], s[86:87], v[72:73]        // 00000000520C: D3B04014 1D20AD14
	v_pk_fma_f32 v[22:23], v[22:23], s[86:87], v[72:73]        // 000000005214: D3B04016 1D20AD16
	v_exp_f32_e32 v20, v20                                     // 00000000521C: 7E284114
	v_exp_f32_e32 v21, v21                                     // 000000005220: 7E2A4115
	v_exp_f32_e32 v22, v22                                     // 000000005224: 7E2C4116
	v_exp_f32_e32 v23, v23                                     // 000000005228: 7E2E4117
	v_pk_fma_f32 v[24:25], v[24:25], s[86:87], v[72:73]        // 00000000522C: D3B04018 1D20AD18
	v_pk_fma_f32 v[26:27], v[26:27], s[86:87], v[72:73]        // 000000005234: D3B0401A 1D20AD1A
	v_exp_f32_e32 v24, v24                                     // 00000000523C: 7E304118
	v_exp_f32_e32 v25, v25                                     // 000000005240: 7E324119
	v_exp_f32_e32 v26, v26                                     // 000000005244: 7E34411A
	v_exp_f32_e32 v27, v27                                     // 000000005248: 7E36411B
	v_pk_fma_f32 v[28:29], v[28:29], s[86:87], v[72:73]        // 00000000524C: D3B0401C 1D20AD1C
	v_pk_fma_f32 v[30:31], v[30:31], s[86:87], v[72:73]        // 000000005254: D3B0401E 1D20AD1E
	v_exp_f32_e32 v28, v28                                     // 00000000525C: 7E38411C
	v_exp_f32_e32 v29, v29                                     // 000000005260: 7E3A411D
	v_exp_f32_e32 v30, v30                                     // 000000005264: 7E3C411E
	v_exp_f32_e32 v31, v31                                     // 000000005268: 7E3E411F
	v_mul_f32_dpp v32, v69, v16 row_newbcast:0 row_mask:0xf bank_mask:0xf// 00000000526C: 0A4020FA FF015045
	v_mul_f32_dpp v33, v69, v17 row_newbcast:1 row_mask:0xf bank_mask:0xf// 000000005274: 0A4222FA FF015145
	v_mul_f32_dpp v34, v69, v18 row_newbcast:2 row_mask:0xf bank_mask:0xf// 00000000527C: 0A4424FA FF015245
	v_mul_f32_dpp v35, v69, v19 row_newbcast:3 row_mask:0xf bank_mask:0xf// 000000005284: 0A4626FA FF015345
	v_mul_f32_dpp v36, v69, v20 row_newbcast:4 row_mask:0xf bank_mask:0xf// 00000000528C: 0A4828FA FF015445
	v_mul_f32_dpp v37, v69, v21 row_newbcast:5 row_mask:0xf bank_mask:0xf// 000000005294: 0A4A2AFA FF015545
	v_mul_f32_dpp v38, v69, v22 row_newbcast:6 row_mask:0xf bank_mask:0xf// 00000000529C: 0A4C2CFA FF015645
	v_mul_f32_dpp v39, v69, v23 row_newbcast:7 row_mask:0xf bank_mask:0xf// 0000000052A4: 0A4E2EFA FF015745
	v_mul_f32_dpp v40, v69, v24 row_newbcast:8 row_mask:0xf bank_mask:0xf// 0000000052AC: 0A5030FA FF015845
	v_mul_f32_dpp v41, v69, v25 row_newbcast:9 row_mask:0xf bank_mask:0xf// 0000000052B4: 0A5232FA FF015945
	v_mul_f32_dpp v42, v69, v26 row_newbcast:10 row_mask:0xf bank_mask:0xf// 0000000052BC: 0A5434FA FF015A45
	v_mul_f32_dpp v43, v69, v27 row_newbcast:11 row_mask:0xf bank_mask:0xf// 0000000052C4: 0A5636FA FF015B45
	v_mul_f32_dpp v44, v69, v28 row_newbcast:12 row_mask:0xf bank_mask:0xf// 0000000052CC: 0A5838FA FF015C45
	v_mul_f32_dpp v45, v69, v29 row_newbcast:13 row_mask:0xf bank_mask:0xf// 0000000052D4: 0A5A3AFA FF015D45
	v_mul_f32_dpp v46, v69, v30 row_newbcast:14 row_mask:0xf bank_mask:0xf// 0000000052DC: 0A5C3CFA FF015E45
	v_mul_f32_dpp v47, v69, v31 row_newbcast:15 row_mask:0xf bank_mask:0xf// 0000000052E4: 0A5E3EFA FF015F45
	v_mov_b32_e32 v92, 0x358637bd                              // 0000000052EC: 7EB802FF 358637BD
	v_max3_f32 v92, |v32|, |v33|, v92                          // 0000000052F4: D1D3035C 05724320
	v_max3_f32 v92, |v34|, |v35|, v92                          // 0000000052FC: D1D3035C 05724722
	v_max3_f32 v92, |v36|, |v37|, v92                          // 000000005304: D1D3035C 05724B24
	v_max3_f32 v92, |v38|, |v39|, v92                          // 00000000530C: D1D3035C 05724F26
	v_max3_f32 v92, |v40|, |v41|, v92                          // 000000005314: D1D3035C 05725328
	v_max3_f32 v92, |v42|, |v43|, v92                          // 00000000531C: D1D3035C 0572572A
	v_max3_f32 v92, |v44|, |v45|, v92                          // 000000005324: D1D3035C 05725B2C
	v_max3_f32 v92, |v46|, |v47|, v92                          // 00000000532C: D1D3035C 05725F2E
	ds_write_b32 v122, v92 offset:1280                         // 000000005334: D81A0500 00005C7A
	buffer_load_dword v66, v114, s[28:31], 0 offen             // 00000000533C: E0501000 80074272
	v_sub_f32_e32 v94, v96, v97                                // 000000005344: 04BCC360
	v_cmp_eq_u32_e64 s[84:85], v105, v96                       // 000000005348: D0CA0054 0002C169
	s_nop 0                                                    // 000000005350: BF800000
	v_cndmask_b32_e64 v94, v94, 0, s[84:85]                    // 000000005354: D100005E 0151015E
	v_mov_b32_e32 v96, v97                                     // 00000000535C: 7EC00361
	v_mul_f32_e32 v94, s51, v94                                // 000000005360: 0ABCBC33
	v_exp_f32_e32 v94, v94                                     // 000000005364: 7EBC415E
	s_nop 0                                                    // 000000005368: BF800000
	v_mov_b32_e32 v95, v94                                     // 00000000536C: 7EBE035E
	buffer_load_dword v68, v115, s[32:35], 0 offen             // 000000005370: E0501000 80084473
	s_waitcnt lgkmcnt(0)                                       // 000000005378: BF8CC07F
	s_barrier                                                  // 00000000537C: BF8A0000
	v_mul_f32_e32 v98, v94, v98                                // 000000005380: 0AC4C55E
	v_add_f32_e32 v98, v16, v98                                // 000000005384: 02C4C510
	v_add_f32_e32 v98, v17, v98                                // 000000005388: 02C4C511
	v_add_f32_e32 v98, v18, v98                                // 00000000538C: 02C4C512
	v_add_f32_e32 v98, v19, v98                                // 000000005390: 02C4C513
	v_add_f32_e32 v98, v20, v98                                // 000000005394: 02C4C514
	v_add_f32_e32 v98, v21, v98                                // 000000005398: 02C4C515
	v_add_f32_e32 v98, v22, v98                                // 00000000539C: 02C4C516
	v_add_f32_e32 v98, v23, v98                                // 0000000053A0: 02C4C517
	v_add_f32_e32 v98, v24, v98                                // 0000000053A4: 02C4C518
	v_add_f32_e32 v98, v25, v98                                // 0000000053A8: 02C4C519
	v_add_f32_e32 v98, v26, v98                                // 0000000053AC: 02C4C51A
	v_add_f32_e32 v98, v27, v98                                // 0000000053B0: 02C4C51B
	v_add_f32_e32 v98, v28, v98                                // 0000000053B4: 02C4C51C
	v_add_f32_e32 v98, v29, v98                                // 0000000053B8: 02C4C51D
	v_add_f32_e32 v98, v30, v98                                // 0000000053BC: 02C4C51E
	v_add_f32_e32 v98, v31, v98                                // 0000000053C0: 02C4C51F
	buffer_load_dwordx4 a[68:71], v111, s[16:19], 0 offen      // 0000000053C4: E05C1000 8084446F
	ds_read_b32 v76, v123 offset:1280                          // 0000000053CC: D86C0500 4C00007B
	ds_read_b32 v77, v123 offset:1344                          // 0000000053D4: D86C0540 4D00007B
	ds_read_b32 v78, v123 offset:1408                          // 0000000053DC: D86C0580 4E00007B
	ds_read_b32 v79, v123 offset:1472                          // 0000000053E4: D86C05C0 4F00007B
	ds_read_b32 v80, v123 offset:1536                          // 0000000053EC: D86C0600 5000007B
	ds_read_b32 v81, v123 offset:1600                          // 0000000053F4: D86C0640 5100007B
	ds_read_b32 v82, v123 offset:1664                          // 0000000053FC: D86C0680 5200007B
	ds_read_b32 v83, v123 offset:1728                          // 000000005404: D86C06C0 5300007B
	ds_read_b32 v84, v123 offset:1792                          // 00000000540C: D86C0700 5400007B
	ds_read_b32 v85, v123 offset:1856                          // 000000005414: D86C0740 5500007B
	ds_read_b32 v86, v123 offset:1920                          // 00000000541C: D86C0780 5600007B
	ds_read_b32 v87, v123 offset:1984                          // 000000005424: D86C07C0 5700007B
	ds_read_b32 v88, v123 offset:2048                          // 00000000542C: D86C0800 5800007B
	ds_read_b32 v89, v123 offset:2112                          // 000000005434: D86C0840 5900007B
	ds_read_b32 v90, v123 offset:2176                          // 00000000543C: D86C0880 5A00007B
	ds_read_b32 v91, v123 offset:2240                          // 000000005444: D86C08C0 5B00007B
	buffer_load_dwordx4 a[64:67], v110, s[16:19], 0 offen      // 00000000544C: E05C1000 8084406E
	s_waitcnt lgkmcnt(0)                                       // 000000005454: BF8CC07F
	v_max3_f32 v92, v76, v77, v92                              // 000000005458: D1D3005C 05729B4C
	v_max3_f32 v92, v78, v79, v92                              // 000000005460: D1D3005C 05729F4E
	v_max3_f32 v92, v80, v81, v92                              // 000000005468: D1D3005C 0572A350
	v_max3_f32 v92, v82, v83, v92                              // 000000005470: D1D3005C 0572A752
	v_max3_f32 v92, v84, v85, v92                              // 000000005478: D1D3005C 0572AB54
	v_max3_f32 v92, v86, v87, v92                              // 000000005480: D1D3005C 0572AF56
	v_max3_f32 v92, v88, v89, v92                              // 000000005488: D1D3005C 0572B358
	v_max3_f32 v92, v90, v91, v92                              // 000000005490: D1D3005C 0572B75A
	v_rcp_f32_e32 v92, v92                                     // 000000005498: 7EB8455C
	s_nop 0                                                    // 00000000549C: BF800000
	v_mul_f32_e32 v92, 0x43700000, v92                         // 0000000054A0: 0AB8B8FF 43700000
	v_mov_b32_e32 v93, v92                                     // 0000000054A8: 7EBA035C
	v_pk_mul_f32 v[16:17], v[92:93], v[32:33]                  // 0000000054AC: D3B14010 1802415C
	v_pk_mul_f32 v[18:19], v[92:93], v[34:35]                  // 0000000054B4: D3B14012 1802455C
	v_pk_mul_f32 v[20:21], v[92:93], v[36:37]                  // 0000000054BC: D3B14014 1802495C
	v_pk_mul_f32 v[22:23], v[92:93], v[38:39]                  // 0000000054C4: D3B14016 18024D5C
	v_pk_mul_f32 v[24:25], v[92:93], v[40:41]                  // 0000000054CC: D3B14018 1802515C
	v_pk_mul_f32 v[26:27], v[92:93], v[42:43]                  // 0000000054D4: D3B1401A 1802555C
	v_pk_mul_f32 v[28:29], v[92:93], v[44:45]                  // 0000000054DC: D3B1401C 1802595C
	v_pk_mul_f32 v[30:31], v[92:93], v[46:47]                  // 0000000054E4: D3B1401E 18025D5C
	v_cvt_pk_fp8_f32 v16, v16, v17                             // 0000000054EC: D2A20010 00022310
	v_cvt_pk_fp8_f32 v16, v18, v19 op_sel:[0,0,1]              // 0000000054F4: D2A24010 00022712
	v_cvt_pk_fp8_f32 v17, v20, v21                             // 0000000054FC: D2A20011 00022B14
	v_cvt_pk_fp8_f32 v17, v22, v23 op_sel:[0,0,1]              // 000000005504: D2A24011 00022F16
	v_cvt_pk_fp8_f32 v18, v24, v25                             // 00000000550C: D2A20012 00023318
	v_cvt_pk_fp8_f32 v18, v26, v27 op_sel:[0,0,1]              // 000000005514: D2A24012 0002371A
	v_cvt_pk_fp8_f32 v19, v28, v29                             // 00000000551C: D2A20013 00023B1C
	v_cvt_pk_fp8_f32 v19, v30, v31 op_sel:[0,0,1]              // 000000005524: D2A24013 00023F1E
	ds_write_b32 v124, v16 offset:2560                         // 00000000552C: D81A0A00 0000107C
	ds_write_b32 v124, v17 offset:3584                         // 000000005534: D81A0E00 0000117C
	ds_write_b32 v124, v18 offset:4608                         // 00000000553C: D81A1200 0000127C
	ds_write_b32 v124, v19 offset:5632                         // 000000005544: D81A1600 0000137C
	v_rcp_f32_e32 v70, v92                                     // 00000000554C: 7E8C455C
	s_nop 0                                                    // 000000005550: BF800000
	v_mov_b32_e32 v71, v70                                     // 000000005554: 7E8E0346
	buffer_load_dwordx4 a[72:75], v112, s[16:19], 0 offen      // 000000005558: E05C1000 80844870
	v_pk_add_f32 v[56:57], v[56:57], v[48:49]                  // 000000005560: D3B24038 18026138
	v_pk_add_f32 v[58:59], v[58:59], v[50:51]                  // 000000005568: D3B2403A 1802653A
	v_pk_add_f32 v[60:61], v[60:61], v[52:53]                  // 000000005570: D3B2403C 1802693C
	v_pk_add_f32 v[62:63], v[62:63], v[54:55]                  // 000000005578: D3B2403E 18026D3E
	s_waitcnt lgkmcnt(0)                                       // 000000005580: BF8CC07F
	s_barrier                                                  // 000000005584: BF8A0000
	ds_read_b128 v[16:19], v125 offset:2560                    // 000000005588: D9FE0A00 1000007D
	ds_read_b128 v[20:23], v125 offset:3584                    // 000000005590: D9FE0E00 1400007D
	ds_read_b128 v[24:27], v125 offset:4608                    // 000000005598: D9FE1200 1800007D
	ds_read_b128 v[28:31], v125 offset:5632                    // 0000000055A0: D9FE1600 1C00007D
	buffer_load_dwordx4 a[76:79], v113, s[16:19], 0 offen      // 0000000055A8: E05C1000 80844C71
	s_waitcnt vmcnt(14)                                        // 0000000055B0: BF8C0F7E
	s_waitcnt lgkmcnt(3)                                       // 0000000055B4: BF8CC37F
	v_mfma_f32_16x16x32_fp8_fp8 v[48:51], a[96:97], v[16:17], 0// 0000000055B8: D3F30030 0A022160
	v_mfma_f32_16x16x32_fp8_fp8 v[52:55], a[112:113], v[16:17], 0// 0000000055C0: D3F30034 0A022170
	v_mfma_f32_16x16x32_fp8_fp8 v[48:51], a[98:99], v[18:19], v[48:51]// 0000000055C8: D3F30030 0CC22562
	v_mfma_f32_16x16x32_fp8_fp8 v[52:55], a[114:115], v[18:19], v[52:55]// 0000000055D0: D3F30034 0CD22572
	buffer_load_dwordx4 a[80:83], v110, s[16:19], 0 offen offset:1024// 0000000055D8: E05C1400 8084506E
	s_waitcnt lgkmcnt(2)                                       // 0000000055E0: BF8CC27F
	v_mfma_f32_16x16x32_fp8_fp8 v[48:51], a[100:101], v[20:21], v[48:51]// 0000000055E4: D3F30030 0CC22964
	v_mfma_f32_16x16x32_fp8_fp8 v[52:55], a[116:117], v[20:21], v[52:55]// 0000000055EC: D3F30034 0CD22974
	v_mfma_f32_16x16x32_fp8_fp8 v[48:51], a[102:103], v[22:23], v[48:51]// 0000000055F4: D3F30030 0CC22D66
	v_mfma_f32_16x16x32_fp8_fp8 v[52:55], a[118:119], v[22:23], v[52:55]// 0000000055FC: D3F30034 0CD22D76
	buffer_load_dwordx4 a[84:87], v111, s[16:19], 0 offen offset:1024// 000000005604: E05C1400 8084546F
	s_waitcnt lgkmcnt(1)                                       // 00000000560C: BF8CC17F
	v_mfma_f32_16x16x32_fp8_fp8 v[48:51], a[104:105], v[24:25], v[48:51]// 000000005610: D3F30030 0CC23168
	v_mfma_f32_16x16x32_fp8_fp8 v[52:55], a[120:121], v[24:25], v[52:55]// 000000005618: D3F30034 0CD23178
	v_mfma_f32_16x16x32_fp8_fp8 v[48:51], a[106:107], v[26:27], v[48:51]// 000000005620: D3F30030 0CC2356A
	v_mfma_f32_16x16x32_fp8_fp8 v[52:55], a[122:123], v[26:27], v[52:55]// 000000005628: D3F30034 0CD2357A
	buffer_load_dwordx4 a[88:91], v112, s[16:19], 0 offen offset:1024// 000000005630: E05C1400 80845870
	s_waitcnt lgkmcnt(0)                                       // 000000005638: BF8CC07F
	v_mfma_f32_16x16x32_fp8_fp8 v[48:51], a[108:109], v[28:29], v[48:51]// 00000000563C: D3F30030 0CC2396C
	v_mfma_f32_16x16x32_fp8_fp8 v[52:55], a[124:125], v[28:29], v[52:55]// 000000005644: D3F30034 0CD2397C
	v_mfma_f32_16x16x32_fp8_fp8 v[48:51], a[110:111], v[30:31], v[48:51]// 00000000564C: D3F30030 0CC23D6E
	v_mfma_f32_16x16x32_fp8_fp8 v[52:55], a[126:127], v[30:31], v[52:55]// 000000005654: D3F30034 0CD23D7E
	buffer_load_dwordx4 a[92:95], v113, s[16:19], 0 offen offset:1024// 00000000565C: E05C1400 80845C71
	s_addk_i32 s49, 0x100                                      // 000000005664: B7310100
	s_cmp_lt_i32 s49, s50                                      // 000000005668: BF043231
	s_cbranch_scc0 label_112E                                  // 00000000566C: BF8403D2
	s_waitcnt vmcnt(10)                                        // 000000005670: BF8C0F7A
	v_mfma_f32_16x16x32_fp8_fp8 v[16:19], a[0:1], v[8:9], 0    // 000000005674: D3F30010 0A021100
	s_add_u32 s12, s76, s63                                    // 00000000567C: 800C3F4C
	s_addc_u32 s13, s77, 0                                     // 000000005680: 820D804D
	v_mfma_f32_16x16x32_fp8_fp8 v[16:19], a[2:3], v[10:11], v[16:19]// 000000005684: D3F30010 0C421502
	buffer_load_dwordx4 a[32:35], v108, s[12:15], 0 offen      // 00000000568C: E05C1000 8083206C
	v_mfma_f32_16x16x32_fp8_fp8 v[16:19], a[4:5], v[12:13], v[16:19]// 000000005694: D3F30010 0C421904
	s_add_u32 s16, s78, s64                                    // 00000000569C: 8010404E
	s_addc_u32 s17, s79, 0                                     // 0000000056A0: 8211804F
	v_mfma_f32_16x16x32_fp8_fp8 v[16:19], a[6:7], v[14:15], v[16:19]// 0000000056A4: D3F30010 0C421D06
	s_add_u32 s28, s80, s65                                    // 0000000056AC: 801C4150
	s_addc_u32 s29, s81, 0                                     // 0000000056B0: 821D8051
	v_mfma_f32_16x16x32_fp8_fp8 v[20:23], a[8:9], v[8:9], 0    // 0000000056B4: D3F30014 0A021108
	s_add_u32 s32, s82, s65                                    // 0000000056BC: 80204152
	s_addc_u32 s33, s83, 0                                     // 0000000056C0: 82218053
	v_mfma_f32_16x16x32_fp8_fp8 v[20:23], a[10:11], v[10:11], v[20:23]// 0000000056C4: D3F30014 0C52150A
	buffer_load_dwordx4 a[36:39], v109, s[12:15], 0 offen      // 0000000056CC: E05C1000 8083246D
	v_mfma_f32_16x16x32_fp8_fp8 v[20:23], a[12:13], v[12:13], v[20:23]// 0000000056D4: D3F30014 0C52190C
	s_mul_i32 s63, s60, s56                                    // 0000000056DC: 923F383C
	s_mov_b32 s64, s63                                         // 0000000056E0: BEC0003F
	v_mfma_f32_16x16x32_fp8_fp8 v[20:23], a[14:15], v[14:15], v[20:23]// 0000000056E4: D3F30014 0C521D0E
	s_mul_i32 s65, s60, s58                                    // 0000000056EC: 92413A3C
	v_mfma_f32_16x16x32_fp8_fp8 v[24:27], a[16:17], v[8:9], 0  // 0000000056F0: D3F30018 0A021110
	v_mfma_f32_16x16x32_fp8_fp8 v[24:27], a[18:19], v[10:11], v[24:27]// 0000000056F8: D3F30018 0C621512
	buffer_load_dwordx4 a[40:43], v108, s[12:15], 0 offen offset:1024// 000000005700: E05C1400 8083286C
	v_mfma_f32_16x16x32_fp8_fp8 v[24:27], a[20:21], v[12:13], v[24:27]// 000000005708: D3F30018 0C621914
	v_mfma_f32_16x16x32_fp8_fp8 v[24:27], a[22:23], v[14:15], v[24:27]// 000000005710: D3F30018 0C621D16
	v_mfma_f32_16x16x32_fp8_fp8 v[28:31], a[24:25], v[8:9], 0  // 000000005718: D3F3001C 0A021118
	v_mfma_f32_16x16x32_fp8_fp8 v[28:31], a[26:27], v[10:11], v[28:31]// 000000005720: D3F3001C 0C72151A
	buffer_load_dwordx4 a[44:47], v109, s[12:15], 0 offen offset:1024// 000000005728: E05C1400 80832C6D
	v_mfma_f32_16x16x32_fp8_fp8 v[28:31], a[28:29], v[12:13], v[28:31]// 000000005730: D3F3001C 0C72191C
	v_mfma_f32_16x16x32_fp8_fp8 v[28:31], a[30:31], v[14:15], v[28:31]// 000000005738: D3F3001C 0C721D1E
	s_waitcnt vmcnt(12)                                        // 000000005740: BF8C0F7C
	v_pk_mul_f32 v[16:17], v[64:65], v[16:17]                  // 000000005744: D3B14010 18022140
	v_pk_mul_f32 v[18:19], v[64:65], v[18:19]                  // 00000000574C: D3B14012 18022540
	v_mul_f32_dpp v16, v66, v16 row_newbcast:0 row_mask:0xf bank_mask:0xf// 000000005754: 0A2020FA FF015042
	v_mul_f32_dpp v17, v66, v17 row_newbcast:1 row_mask:0xf bank_mask:0xf// 00000000575C: 0A2222FA FF015142
	v_mul_f32_dpp v18, v66, v18 row_newbcast:2 row_mask:0xf bank_mask:0xf// 000000005764: 0A2424FA FF015242
	v_mul_f32_dpp v19, v66, v19 row_newbcast:3 row_mask:0xf bank_mask:0xf// 00000000576C: 0A2626FA FF015342
	v_pk_mul_f32 v[20:21], v[64:65], v[20:21]                  // 000000005774: D3B14014 18022940
	v_pk_mul_f32 v[22:23], v[64:65], v[22:23]                  // 00000000577C: D3B14016 18022D40
	v_mul_f32_dpp v20, v66, v20 row_newbcast:4 row_mask:0xf bank_mask:0xf// 000000005784: 0A2828FA FF015442
	v_mul_f32_dpp v21, v66, v21 row_newbcast:5 row_mask:0xf bank_mask:0xf// 00000000578C: 0A2A2AFA FF015542
	v_mul_f32_dpp v22, v66, v22 row_newbcast:6 row_mask:0xf bank_mask:0xf// 000000005794: 0A2C2CFA FF015642
	v_mul_f32_dpp v23, v66, v23 row_newbcast:7 row_mask:0xf bank_mask:0xf// 00000000579C: 0A2E2EFA FF015742
	v_pk_mul_f32 v[24:25], v[64:65], v[24:25]                  // 0000000057A4: D3B14018 18023140
	v_pk_mul_f32 v[26:27], v[64:65], v[26:27]                  // 0000000057AC: D3B1401A 18023540
	v_mul_f32_dpp v24, v66, v24 row_newbcast:8 row_mask:0xf bank_mask:0xf// 0000000057B4: 0A3030FA FF015842
	v_mul_f32_dpp v25, v66, v25 row_newbcast:9 row_mask:0xf bank_mask:0xf// 0000000057BC: 0A3232FA FF015942
	v_mul_f32_dpp v26, v66, v26 row_newbcast:10 row_mask:0xf bank_mask:0xf// 0000000057C4: 0A3434FA FF015A42
	v_mul_f32_dpp v27, v66, v27 row_newbcast:11 row_mask:0xf bank_mask:0xf// 0000000057CC: 0A3636FA FF015B42
	v_pk_mul_f32 v[28:29], v[64:65], v[28:29]                  // 0000000057D4: D3B1401C 18023940
	v_pk_mul_f32 v[30:31], v[64:65], v[30:31]                  // 0000000057DC: D3B1401E 18023D40
	v_mul_f32_dpp v28, v66, v28 row_newbcast:12 row_mask:0xf bank_mask:0xf// 0000000057E4: 0A3838FA FF015C42
	v_mul_f32_dpp v29, v66, v29 row_newbcast:13 row_mask:0xf bank_mask:0xf// 0000000057EC: 0A3A3AFA FF015D42
	v_mul_f32_dpp v30, v66, v30 row_newbcast:14 row_mask:0xf bank_mask:0xf// 0000000057F4: 0A3C3CFA FF015E42
	v_mul_f32_dpp v31, v66, v31 row_newbcast:15 row_mask:0xf bank_mask:0xf// 0000000057FC: 0A3E3EFA FF015F42
	buffer_load_dwordx4 a[48:51], v108, s[12:15], 0 offen offset:2048// 000000005804: E05C1800 8083306C
	v_mov_b32_e32 v92, v16                                     // 00000000580C: 7EB80310
	v_max3_f32 v92, v16, v17, v92                              // 000000005810: D1D3005C 05722310
	v_max3_f32 v92, v18, v19, v92                              // 000000005818: D1D3005C 05722712
	v_max3_f32 v92, v20, v21, v92                              // 000000005820: D1D3005C 05722B14
	v_max3_f32 v92, v22, v23, v92                              // 000000005828: D1D3005C 05722F16
	v_max3_f32 v92, v24, v25, v92                              // 000000005830: D1D3005C 05723318
	v_max3_f32 v92, v26, v27, v92                              // 000000005838: D1D3005C 0572371A
	v_max3_f32 v92, v28, v29, v92                              // 000000005840: D1D3005C 05723B1C
	v_max3_f32 v92, v30, v31, v92                              // 000000005848: D1D3005C 05723F1E
	ds_write_b32 v122, v92                                     // 000000005850: D81A0000 00005C7A
	v_pk_mul_f32 v[56:57], v[94:95], v[56:57]                  // 000000005858: D3B14038 1802715E
	v_pk_mul_f32 v[58:59], v[94:95], v[58:59]                  // 000000005860: D3B1403A 1802755E
	v_pk_mul_f32 v[60:61], v[94:95], v[60:61]                  // 000000005868: D3B1403C 1802795E
	v_pk_mul_f32 v[62:63], v[94:95], v[62:63]                  // 000000005870: D3B1403E 18027D5E
	buffer_load_dwordx4 a[52:55], v109, s[12:15], 0 offen offset:2048// 000000005878: E05C1800 8083346D
	s_waitcnt lgkmcnt(0)                                       // 000000005880: BF8CC07F
	s_barrier                                                  // 000000005884: BF8A0000
	v_pk_mul_f32 v[48:49], v[70:71], v[48:49]                  // 000000005888: D3B14030 18026146
	v_pk_mul_f32 v[50:51], v[70:71], v[50:51]                  // 000000005890: D3B14032 18026546
	v_pk_mul_f32 v[52:53], v[70:71], v[52:53]                  // 000000005898: D3B14034 18026946
	v_pk_mul_f32 v[54:55], v[70:71], v[54:55]                  // 0000000058A0: D3B14036 18026D46
	buffer_load_dwordx4 a[56:59], v108, s[12:15], 0 offen offset:3072// 0000000058A8: E05C1C00 8083386C
	ds_read_b32 v76, v123                                      // 0000000058B0: D86C0000 4C00007B
	ds_read_b32 v77, v123 offset:64                            // 0000000058B8: D86C0040 4D00007B
	ds_read_b32 v78, v123 offset:128                           // 0000000058C0: D86C0080 4E00007B
	ds_read_b32 v79, v123 offset:192                           // 0000000058C8: D86C00C0 4F00007B
	ds_read_b32 v80, v123 offset:256                           // 0000000058D0: D86C0100 5000007B
	ds_read_b32 v81, v123 offset:320                           // 0000000058D8: D86C0140 5100007B
	ds_read_b32 v82, v123 offset:384                           // 0000000058E0: D86C0180 5200007B
	ds_read_b32 v83, v123 offset:448                           // 0000000058E8: D86C01C0 5300007B
	ds_read_b32 v84, v123 offset:512                           // 0000000058F0: D86C0200 5400007B
	ds_read_b32 v85, v123 offset:576                           // 0000000058F8: D86C0240 5500007B
	ds_read_b32 v86, v123 offset:640                           // 000000005900: D86C0280 5600007B
	ds_read_b32 v87, v123 offset:704                           // 000000005908: D86C02C0 5700007B
	ds_read_b32 v88, v123 offset:768                           // 000000005910: D86C0300 5800007B
	ds_read_b32 v89, v123 offset:832                           // 000000005918: D86C0340 5900007B
	ds_read_b32 v90, v123 offset:896                           // 000000005920: D86C0380 5A00007B
	ds_read_b32 v91, v123 offset:960                           // 000000005928: D86C03C0 5B00007B
	buffer_load_dwordx4 a[60:63], v109, s[12:15], 0 offen offset:3072// 000000005930: E05C1C00 80833C6D
	s_waitcnt lgkmcnt(0)                                       // 000000005938: BF8CC07F
	v_max3_f32 v92, v76, v77, v92                              // 00000000593C: D1D3005C 05729B4C
	v_max3_f32 v92, v78, v79, v92                              // 000000005944: D1D3005C 05729F4E
	v_max3_f32 v92, v80, v81, v92                              // 00000000594C: D1D3005C 0572A350
	v_max3_f32 v92, v82, v83, v92                              // 000000005954: D1D3005C 0572A752
	v_max3_f32 v92, v84, v85, v92                              // 00000000595C: D1D3005C 0572AB54
	v_max3_f32 v92, v86, v87, v92                              // 000000005964: D1D3005C 0572AF56
	v_max3_f32 v92, v88, v89, v92                              // 00000000596C: D1D3005C 0572B358
	v_max3_f32 v92, v90, v91, v92                              // 000000005974: D1D3005C 0572B75A
	v_max_f32_e32 v97, v92, v96                                // 00000000597C: 16C2C15C
	v_mul_f32_e64 v72, -s51, v97                               // 000000005980: D1050048 2002C233
	v_mov_b32_e32 v73, v72                                     // 000000005988: 7E920348
	v_pk_fma_f32 v[16:17], v[16:17], s[86:87], v[72:73]        // 00000000598C: D3B04010 1D20AD10
	v_pk_fma_f32 v[18:19], v[18:19], s[86:87], v[72:73]        // 000000005994: D3B04012 1D20AD12
	v_exp_f32_e32 v16, v16                                     // 00000000599C: 7E204110
	v_exp_f32_e32 v17, v17                                     // 0000000059A0: 7E224111
	v_exp_f32_e32 v18, v18                                     // 0000000059A4: 7E244112
	v_exp_f32_e32 v19, v19                                     // 0000000059A8: 7E264113
	v_pk_fma_f32 v[20:21], v[20:21], s[86:87], v[72:73]        // 0000000059AC: D3B04014 1D20AD14
	v_pk_fma_f32 v[22:23], v[22:23], s[86:87], v[72:73]        // 0000000059B4: D3B04016 1D20AD16
	v_exp_f32_e32 v20, v20                                     // 0000000059BC: 7E284114
	v_exp_f32_e32 v21, v21                                     // 0000000059C0: 7E2A4115
	v_exp_f32_e32 v22, v22                                     // 0000000059C4: 7E2C4116
	v_exp_f32_e32 v23, v23                                     // 0000000059C8: 7E2E4117
	v_pk_fma_f32 v[24:25], v[24:25], s[86:87], v[72:73]        // 0000000059CC: D3B04018 1D20AD18
	v_pk_fma_f32 v[26:27], v[26:27], s[86:87], v[72:73]        // 0000000059D4: D3B0401A 1D20AD1A
	v_exp_f32_e32 v24, v24                                     // 0000000059DC: 7E304118
	v_exp_f32_e32 v25, v25                                     // 0000000059E0: 7E324119
	v_exp_f32_e32 v26, v26                                     // 0000000059E4: 7E34411A
	v_exp_f32_e32 v27, v27                                     // 0000000059E8: 7E36411B
	v_pk_fma_f32 v[28:29], v[28:29], s[86:87], v[72:73]        // 0000000059EC: D3B0401C 1D20AD1C
	v_pk_fma_f32 v[30:31], v[30:31], s[86:87], v[72:73]        // 0000000059F4: D3B0401E 1D20AD1E
	v_exp_f32_e32 v28, v28                                     // 0000000059FC: 7E38411C
	v_exp_f32_e32 v29, v29                                     // 000000005A00: 7E3A411D
	v_exp_f32_e32 v30, v30                                     // 000000005A04: 7E3C411E
	v_exp_f32_e32 v31, v31                                     // 000000005A08: 7E3E411F
	v_mul_f32_dpp v32, v68, v16 row_newbcast:0 row_mask:0xf bank_mask:0xf// 000000005A0C: 0A4020FA FF015044
	v_mul_f32_dpp v33, v68, v17 row_newbcast:1 row_mask:0xf bank_mask:0xf// 000000005A14: 0A4222FA FF015144
	v_mul_f32_dpp v34, v68, v18 row_newbcast:2 row_mask:0xf bank_mask:0xf// 000000005A1C: 0A4424FA FF015244
	v_mul_f32_dpp v35, v68, v19 row_newbcast:3 row_mask:0xf bank_mask:0xf// 000000005A24: 0A4626FA FF015344
	v_mul_f32_dpp v36, v68, v20 row_newbcast:4 row_mask:0xf bank_mask:0xf// 000000005A2C: 0A4828FA FF015444
	v_mul_f32_dpp v37, v68, v21 row_newbcast:5 row_mask:0xf bank_mask:0xf// 000000005A34: 0A4A2AFA FF015544
	v_mul_f32_dpp v38, v68, v22 row_newbcast:6 row_mask:0xf bank_mask:0xf// 000000005A3C: 0A4C2CFA FF015644
	v_mul_f32_dpp v39, v68, v23 row_newbcast:7 row_mask:0xf bank_mask:0xf// 000000005A44: 0A4E2EFA FF015744
	v_mul_f32_dpp v40, v68, v24 row_newbcast:8 row_mask:0xf bank_mask:0xf// 000000005A4C: 0A5030FA FF015844
	v_mul_f32_dpp v41, v68, v25 row_newbcast:9 row_mask:0xf bank_mask:0xf// 000000005A54: 0A5232FA FF015944
	v_mul_f32_dpp v42, v68, v26 row_newbcast:10 row_mask:0xf bank_mask:0xf// 000000005A5C: 0A5434FA FF015A44
	v_mul_f32_dpp v43, v68, v27 row_newbcast:11 row_mask:0xf bank_mask:0xf// 000000005A64: 0A5636FA FF015B44
	v_mul_f32_dpp v44, v68, v28 row_newbcast:12 row_mask:0xf bank_mask:0xf// 000000005A6C: 0A5838FA FF015C44
	v_mul_f32_dpp v45, v68, v29 row_newbcast:13 row_mask:0xf bank_mask:0xf// 000000005A74: 0A5A3AFA FF015D44
	v_mul_f32_dpp v46, v68, v30 row_newbcast:14 row_mask:0xf bank_mask:0xf// 000000005A7C: 0A5C3CFA FF015E44
	v_mul_f32_dpp v47, v68, v31 row_newbcast:15 row_mask:0xf bank_mask:0xf// 000000005A84: 0A5E3EFA FF015F44
	v_mov_b32_e32 v92, 0x358637bd                              // 000000005A8C: 7EB802FF 358637BD
	v_max3_f32 v92, |v32|, |v33|, v92                          // 000000005A94: D1D3035C 05724320
	v_max3_f32 v92, |v34|, |v35|, v92                          // 000000005A9C: D1D3035C 05724722
	v_max3_f32 v92, |v36|, |v37|, v92                          // 000000005AA4: D1D3035C 05724B24
	v_max3_f32 v92, |v38|, |v39|, v92                          // 000000005AAC: D1D3035C 05724F26
	v_max3_f32 v92, |v40|, |v41|, v92                          // 000000005AB4: D1D3035C 05725328
	v_max3_f32 v92, |v42|, |v43|, v92                          // 000000005ABC: D1D3035C 0572572A
	v_max3_f32 v92, |v44|, |v45|, v92                          // 000000005AC4: D1D3035C 05725B2C
	v_max3_f32 v92, |v46|, |v47|, v92                          // 000000005ACC: D1D3035C 05725F2E
	ds_write_b32 v122, v92 offset:1280                         // 000000005AD4: D81A0500 00005C7A
	buffer_load_dword v67, v114, s[28:31], 0 offen             // 000000005ADC: E0501000 80074372
	v_sub_f32_e32 v94, v96, v97                                // 000000005AE4: 04BCC360
	v_cmp_eq_u32_e64 s[84:85], v105, v96                       // 000000005AE8: D0CA0054 0002C169
	s_nop 0                                                    // 000000005AF0: BF800000
	v_cndmask_b32_e64 v94, v94, 0, s[84:85]                    // 000000005AF4: D100005E 0151015E
	v_mov_b32_e32 v96, v97                                     // 000000005AFC: 7EC00361
	v_mul_f32_e32 v94, s51, v94                                // 000000005B00: 0ABCBC33
	v_exp_f32_e32 v94, v94                                     // 000000005B04: 7EBC415E
	s_nop 0                                                    // 000000005B08: BF800000
	v_mov_b32_e32 v95, v94                                     // 000000005B0C: 7EBE035E
	buffer_load_dword v69, v115, s[32:35], 0 offen             // 000000005B10: E0501000 80084573
	s_waitcnt lgkmcnt(0)                                       // 000000005B18: BF8CC07F
	s_barrier                                                  // 000000005B1C: BF8A0000
	v_mul_f32_e32 v98, v94, v98                                // 000000005B20: 0AC4C55E
	v_add_f32_e32 v98, v16, v98                                // 000000005B24: 02C4C510
	v_add_f32_e32 v98, v17, v98                                // 000000005B28: 02C4C511
	v_add_f32_e32 v98, v18, v98                                // 000000005B2C: 02C4C512
	v_add_f32_e32 v98, v19, v98                                // 000000005B30: 02C4C513
	v_add_f32_e32 v98, v20, v98                                // 000000005B34: 02C4C514
	v_add_f32_e32 v98, v21, v98                                // 000000005B38: 02C4C515
	v_add_f32_e32 v98, v22, v98                                // 000000005B3C: 02C4C516
	v_add_f32_e32 v98, v23, v98                                // 000000005B40: 02C4C517
	v_add_f32_e32 v98, v24, v98                                // 000000005B44: 02C4C518
	v_add_f32_e32 v98, v25, v98                                // 000000005B48: 02C4C519
	v_add_f32_e32 v98, v26, v98                                // 000000005B4C: 02C4C51A
	v_add_f32_e32 v98, v27, v98                                // 000000005B50: 02C4C51B
	v_add_f32_e32 v98, v28, v98                                // 000000005B54: 02C4C51C
	v_add_f32_e32 v98, v29, v98                                // 000000005B58: 02C4C51D
	v_add_f32_e32 v98, v30, v98                                // 000000005B5C: 02C4C51E
	v_add_f32_e32 v98, v31, v98                                // 000000005B60: 02C4C51F
	buffer_load_dwordx4 a[100:103], v111, s[16:19], 0 offen    // 000000005B64: E05C1000 8084646F
	ds_read_b32 v76, v123 offset:1280                          // 000000005B6C: D86C0500 4C00007B
	ds_read_b32 v77, v123 offset:1344                          // 000000005B74: D86C0540 4D00007B
	ds_read_b32 v78, v123 offset:1408                          // 000000005B7C: D86C0580 4E00007B
	ds_read_b32 v79, v123 offset:1472                          // 000000005B84: D86C05C0 4F00007B
	ds_read_b32 v80, v123 offset:1536                          // 000000005B8C: D86C0600 5000007B
	ds_read_b32 v81, v123 offset:1600                          // 000000005B94: D86C0640 5100007B
	ds_read_b32 v82, v123 offset:1664                          // 000000005B9C: D86C0680 5200007B
	ds_read_b32 v83, v123 offset:1728                          // 000000005BA4: D86C06C0 5300007B
	ds_read_b32 v84, v123 offset:1792                          // 000000005BAC: D86C0700 5400007B
	ds_read_b32 v85, v123 offset:1856                          // 000000005BB4: D86C0740 5500007B
	ds_read_b32 v86, v123 offset:1920                          // 000000005BBC: D86C0780 5600007B
	ds_read_b32 v87, v123 offset:1984                          // 000000005BC4: D86C07C0 5700007B
	ds_read_b32 v88, v123 offset:2048                          // 000000005BCC: D86C0800 5800007B
	ds_read_b32 v89, v123 offset:2112                          // 000000005BD4: D86C0840 5900007B
	ds_read_b32 v90, v123 offset:2176                          // 000000005BDC: D86C0880 5A00007B
	ds_read_b32 v91, v123 offset:2240                          // 000000005BE4: D86C08C0 5B00007B
	buffer_load_dwordx4 a[96:99], v110, s[16:19], 0 offen      // 000000005BEC: E05C1000 8084606E
	s_waitcnt lgkmcnt(0)                                       // 000000005BF4: BF8CC07F
	v_max3_f32 v92, v76, v77, v92                              // 000000005BF8: D1D3005C 05729B4C
	v_max3_f32 v92, v78, v79, v92                              // 000000005C00: D1D3005C 05729F4E
	v_max3_f32 v92, v80, v81, v92                              // 000000005C08: D1D3005C 0572A350
	v_max3_f32 v92, v82, v83, v92                              // 000000005C10: D1D3005C 0572A752
	v_max3_f32 v92, v84, v85, v92                              // 000000005C18: D1D3005C 0572AB54
	v_max3_f32 v92, v86, v87, v92                              // 000000005C20: D1D3005C 0572AF56
	v_max3_f32 v92, v88, v89, v92                              // 000000005C28: D1D3005C 0572B358
	v_max3_f32 v92, v90, v91, v92                              // 000000005C30: D1D3005C 0572B75A
	v_rcp_f32_e32 v92, v92                                     // 000000005C38: 7EB8455C
	s_nop 0                                                    // 000000005C3C: BF800000
	v_mul_f32_e32 v92, 0x43700000, v92                         // 000000005C40: 0AB8B8FF 43700000
	v_mov_b32_e32 v93, v92                                     // 000000005C48: 7EBA035C
	v_pk_mul_f32 v[16:17], v[92:93], v[32:33]                  // 000000005C4C: D3B14010 1802415C
	v_pk_mul_f32 v[18:19], v[92:93], v[34:35]                  // 000000005C54: D3B14012 1802455C
	v_pk_mul_f32 v[20:21], v[92:93], v[36:37]                  // 000000005C5C: D3B14014 1802495C
	v_pk_mul_f32 v[22:23], v[92:93], v[38:39]                  // 000000005C64: D3B14016 18024D5C
	v_pk_mul_f32 v[24:25], v[92:93], v[40:41]                  // 000000005C6C: D3B14018 1802515C
	v_pk_mul_f32 v[26:27], v[92:93], v[42:43]                  // 000000005C74: D3B1401A 1802555C
	v_pk_mul_f32 v[28:29], v[92:93], v[44:45]                  // 000000005C7C: D3B1401C 1802595C
	v_pk_mul_f32 v[30:31], v[92:93], v[46:47]                  // 000000005C84: D3B1401E 18025D5C
	v_cvt_pk_fp8_f32 v16, v16, v17                             // 000000005C8C: D2A20010 00022310
	v_cvt_pk_fp8_f32 v16, v18, v19 op_sel:[0,0,1]              // 000000005C94: D2A24010 00022712
	v_cvt_pk_fp8_f32 v17, v20, v21                             // 000000005C9C: D2A20011 00022B14
	v_cvt_pk_fp8_f32 v17, v22, v23 op_sel:[0,0,1]              // 000000005CA4: D2A24011 00022F16
	v_cvt_pk_fp8_f32 v18, v24, v25                             // 000000005CAC: D2A20012 00023318
	v_cvt_pk_fp8_f32 v18, v26, v27 op_sel:[0,0,1]              // 000000005CB4: D2A24012 0002371A
	v_cvt_pk_fp8_f32 v19, v28, v29                             // 000000005CBC: D2A20013 00023B1C
	v_cvt_pk_fp8_f32 v19, v30, v31 op_sel:[0,0,1]              // 000000005CC4: D2A24013 00023F1E
	ds_write_b32 v124, v16 offset:2560                         // 000000005CCC: D81A0A00 0000107C
	ds_write_b32 v124, v17 offset:3584                         // 000000005CD4: D81A0E00 0000117C
	ds_write_b32 v124, v18 offset:4608                         // 000000005CDC: D81A1200 0000127C
	ds_write_b32 v124, v19 offset:5632                         // 000000005CE4: D81A1600 0000137C
	v_rcp_f32_e32 v70, v92                                     // 000000005CEC: 7E8C455C
	s_nop 0                                                    // 000000005CF0: BF800000
	v_mov_b32_e32 v71, v70                                     // 000000005CF4: 7E8E0346
	buffer_load_dwordx4 a[104:107], v112, s[16:19], 0 offen    // 000000005CF8: E05C1000 80846870
	v_pk_add_f32 v[56:57], v[56:57], v[48:49]                  // 000000005D00: D3B24038 18026138
	v_pk_add_f32 v[58:59], v[58:59], v[50:51]                  // 000000005D08: D3B2403A 1802653A
	v_pk_add_f32 v[60:61], v[60:61], v[52:53]                  // 000000005D10: D3B2403C 1802693C
	v_pk_add_f32 v[62:63], v[62:63], v[54:55]                  // 000000005D18: D3B2403E 18026D3E
	s_waitcnt lgkmcnt(0)                                       // 000000005D20: BF8CC07F
	s_barrier                                                  // 000000005D24: BF8A0000
	ds_read_b128 v[16:19], v125 offset:2560                    // 000000005D28: D9FE0A00 1000007D
	ds_read_b128 v[20:23], v125 offset:3584                    // 000000005D30: D9FE0E00 1400007D
	ds_read_b128 v[24:27], v125 offset:4608                    // 000000005D38: D9FE1200 1800007D
	ds_read_b128 v[28:31], v125 offset:5632                    // 000000005D40: D9FE1600 1C00007D
	buffer_load_dwordx4 a[108:111], v113, s[16:19], 0 offen    // 000000005D48: E05C1000 80846C71
	s_waitcnt vmcnt(14)                                        // 000000005D50: BF8C0F7E
	s_waitcnt lgkmcnt(3)                                       // 000000005D54: BF8CC37F
	v_mfma_f32_16x16x32_fp8_fp8 v[48:51], a[64:65], v[16:17], 0// 000000005D58: D3F30030 0A022140
	v_mfma_f32_16x16x32_fp8_fp8 v[52:55], a[80:81], v[16:17], 0// 000000005D60: D3F30034 0A022150
	v_mfma_f32_16x16x32_fp8_fp8 v[48:51], a[66:67], v[18:19], v[48:51]// 000000005D68: D3F30030 0CC22542
	v_mfma_f32_16x16x32_fp8_fp8 v[52:55], a[82:83], v[18:19], v[52:55]// 000000005D70: D3F30034 0CD22552
	buffer_load_dwordx4 a[112:115], v110, s[16:19], 0 offen offset:1024// 000000005D78: E05C1400 8084706E
	s_waitcnt lgkmcnt(2)                                       // 000000005D80: BF8CC27F
	v_mfma_f32_16x16x32_fp8_fp8 v[48:51], a[68:69], v[20:21], v[48:51]// 000000005D84: D3F30030 0CC22944
	v_mfma_f32_16x16x32_fp8_fp8 v[52:55], a[84:85], v[20:21], v[52:55]// 000000005D8C: D3F30034 0CD22954
	v_mfma_f32_16x16x32_fp8_fp8 v[48:51], a[70:71], v[22:23], v[48:51]// 000000005D94: D3F30030 0CC22D46
	v_mfma_f32_16x16x32_fp8_fp8 v[52:55], a[86:87], v[22:23], v[52:55]// 000000005D9C: D3F30034 0CD22D56
	buffer_load_dwordx4 a[116:119], v111, s[16:19], 0 offen offset:1024// 000000005DA4: E05C1400 8084746F
	s_waitcnt lgkmcnt(1)                                       // 000000005DAC: BF8CC17F
	v_mfma_f32_16x16x32_fp8_fp8 v[48:51], a[72:73], v[24:25], v[48:51]// 000000005DB0: D3F30030 0CC23148
	v_mfma_f32_16x16x32_fp8_fp8 v[52:55], a[88:89], v[24:25], v[52:55]// 000000005DB8: D3F30034 0CD23158
	v_mfma_f32_16x16x32_fp8_fp8 v[48:51], a[74:75], v[26:27], v[48:51]// 000000005DC0: D3F30030 0CC2354A
	v_mfma_f32_16x16x32_fp8_fp8 v[52:55], a[90:91], v[26:27], v[52:55]// 000000005DC8: D3F30034 0CD2355A
	buffer_load_dwordx4 a[120:123], v112, s[16:19], 0 offen offset:1024// 000000005DD0: E05C1400 80847870
	s_waitcnt lgkmcnt(0)                                       // 000000005DD8: BF8CC07F
	v_mfma_f32_16x16x32_fp8_fp8 v[48:51], a[76:77], v[28:29], v[48:51]// 000000005DDC: D3F30030 0CC2394C
	v_mfma_f32_16x16x32_fp8_fp8 v[52:55], a[92:93], v[28:29], v[52:55]// 000000005DE4: D3F30034 0CD2395C
	v_mfma_f32_16x16x32_fp8_fp8 v[48:51], a[78:79], v[30:31], v[48:51]// 000000005DEC: D3F30030 0CC23D4E
	v_mfma_f32_16x16x32_fp8_fp8 v[52:55], a[94:95], v[30:31], v[52:55]// 000000005DF4: D3F30034 0CD23D5E
	buffer_load_dwordx4 a[124:127], v113, s[16:19], 0 offen offset:1024// 000000005DFC: E05C1400 80847C71
	s_addk_i32 s49, 0x100                                      // 000000005E04: B7310100
	s_cmp_lt_i32 s49, s50                                      // 000000005E08: BF043231
	s_cbranch_scc0 label_1351                                  // 000000005E0C: BF84040D
	s_waitcnt vmcnt(10)                                        // 000000005E10: BF8C0F7A
	v_mfma_f32_16x16x32_fp8_fp8 v[16:19], a[32:33], v[8:9], 0  // 000000005E14: D3F30010 0A021120
	s_add_u32 s12, s76, s63                                    // 000000005E1C: 800C3F4C
	s_addc_u32 s13, s77, 0                                     // 000000005E20: 820D804D
	v_mfma_f32_16x16x32_fp8_fp8 v[16:19], a[34:35], v[10:11], v[16:19]// 000000005E24: D3F30010 0C421522
	buffer_load_dwordx4 a[0:3], v108, s[12:15], 0 offen        // 000000005E2C: E05C1000 8083006C
	v_mfma_f32_16x16x32_fp8_fp8 v[16:19], a[36:37], v[12:13], v[16:19]// 000000005E34: D3F30010 0C421924
	s_add_u32 s16, s78, s64                                    // 000000005E3C: 8010404E
	s_addc_u32 s17, s79, 0                                     // 000000005E40: 8211804F
	v_mfma_f32_16x16x32_fp8_fp8 v[16:19], a[38:39], v[14:15], v[16:19]// 000000005E44: D3F30010 0C421D26
	s_add_u32 s28, s80, s65                                    // 000000005E4C: 801C4150
	s_addc_u32 s29, s81, 0                                     // 000000005E50: 821D8051
	v_mfma_f32_16x16x32_fp8_fp8 v[20:23], a[40:41], v[8:9], 0  // 000000005E54: D3F30014 0A021128
	s_add_u32 s32, s82, s65                                    // 000000005E5C: 80204152
	s_addc_u32 s33, s83, 0                                     // 000000005E60: 82218053
	v_mfma_f32_16x16x32_fp8_fp8 v[20:23], a[42:43], v[10:11], v[20:23]// 000000005E64: D3F30014 0C52152A
	buffer_load_dwordx4 a[4:7], v109, s[12:15], 0 offen        // 000000005E6C: E05C1000 8083046D
	v_mfma_f32_16x16x32_fp8_fp8 v[20:23], a[44:45], v[12:13], v[20:23]// 000000005E74: D3F30014 0C52192C
	s_add_u32 s63, s63, 0x1000                                 // 000000005E7C: 803FFF3F 00001000
	s_add_u32 s64, s64, 0x8000                                 // 000000005E84: 8040FF40 00008000
	v_mfma_f32_16x16x32_fp8_fp8 v[20:23], a[46:47], v[14:15], v[20:23]// 000000005E8C: D3F30014 0C521D2E
	s_add_u32 s65, s65, 0x400                                  // 000000005E94: 8041FF41 00000400
	v_mfma_f32_16x16x32_fp8_fp8 v[24:27], a[48:49], v[8:9], 0  // 000000005E9C: D3F30018 0A021130
	v_mfma_f32_16x16x32_fp8_fp8 v[24:27], a[50:51], v[10:11], v[24:27]// 000000005EA4: D3F30018 0C621532
	buffer_load_dwordx4 a[8:11], v108, s[12:15], 0 offen offset:1024// 000000005EAC: E05C1400 8083086C
	v_mfma_f32_16x16x32_fp8_fp8 v[24:27], a[52:53], v[12:13], v[24:27]// 000000005EB4: D3F30018 0C621934
	v_mfma_f32_16x16x32_fp8_fp8 v[24:27], a[54:55], v[14:15], v[24:27]// 000000005EBC: D3F30018 0C621D36
	v_mfma_f32_16x16x32_fp8_fp8 v[28:31], a[56:57], v[8:9], 0  // 000000005EC4: D3F3001C 0A021138
	v_mfma_f32_16x16x32_fp8_fp8 v[28:31], a[58:59], v[10:11], v[28:31]// 000000005ECC: D3F3001C 0C72153A
	buffer_load_dwordx4 a[12:15], v109, s[12:15], 0 offen offset:1024// 000000005ED4: E05C1400 80830C6D
	v_mfma_f32_16x16x32_fp8_fp8 v[28:31], a[60:61], v[12:13], v[28:31]// 000000005EDC: D3F3001C 0C72193C
	v_mfma_f32_16x16x32_fp8_fp8 v[28:31], a[62:63], v[14:15], v[28:31]// 000000005EE4: D3F3001C 0C721D3E
	s_waitcnt vmcnt(12)                                        // 000000005EEC: BF8C0F7C
	v_pk_mul_f32 v[16:17], v[64:65], v[16:17]                  // 000000005EF0: D3B14010 18022140
	v_pk_mul_f32 v[18:19], v[64:65], v[18:19]                  // 000000005EF8: D3B14012 18022540
	v_mul_f32_dpp v16, v67, v16 row_newbcast:0 row_mask:0xf bank_mask:0xf// 000000005F00: 0A2020FA FF015043
	v_mul_f32_dpp v17, v67, v17 row_newbcast:1 row_mask:0xf bank_mask:0xf// 000000005F08: 0A2222FA FF015143
	v_mul_f32_dpp v18, v67, v18 row_newbcast:2 row_mask:0xf bank_mask:0xf// 000000005F10: 0A2424FA FF015243
	v_mul_f32_dpp v19, v67, v19 row_newbcast:3 row_mask:0xf bank_mask:0xf// 000000005F18: 0A2626FA FF015343
	v_pk_mul_f32 v[20:21], v[64:65], v[20:21]                  // 000000005F20: D3B14014 18022940
	v_pk_mul_f32 v[22:23], v[64:65], v[22:23]                  // 000000005F28: D3B14016 18022D40
	v_mul_f32_dpp v20, v67, v20 row_newbcast:4 row_mask:0xf bank_mask:0xf// 000000005F30: 0A2828FA FF015443
	v_mul_f32_dpp v21, v67, v21 row_newbcast:5 row_mask:0xf bank_mask:0xf// 000000005F38: 0A2A2AFA FF015543
	v_mul_f32_dpp v22, v67, v22 row_newbcast:6 row_mask:0xf bank_mask:0xf// 000000005F40: 0A2C2CFA FF015643
	v_mul_f32_dpp v23, v67, v23 row_newbcast:7 row_mask:0xf bank_mask:0xf// 000000005F48: 0A2E2EFA FF015743
	v_pk_mul_f32 v[24:25], v[64:65], v[24:25]                  // 000000005F50: D3B14018 18023140
	v_pk_mul_f32 v[26:27], v[64:65], v[26:27]                  // 000000005F58: D3B1401A 18023540
	v_mul_f32_dpp v24, v67, v24 row_newbcast:8 row_mask:0xf bank_mask:0xf// 000000005F60: 0A3030FA FF015843
	v_mul_f32_dpp v25, v67, v25 row_newbcast:9 row_mask:0xf bank_mask:0xf// 000000005F68: 0A3232FA FF015943
	v_mul_f32_dpp v26, v67, v26 row_newbcast:10 row_mask:0xf bank_mask:0xf// 000000005F70: 0A3434FA FF015A43
	v_mul_f32_dpp v27, v67, v27 row_newbcast:11 row_mask:0xf bank_mask:0xf// 000000005F78: 0A3636FA FF015B43
	v_pk_mul_f32 v[28:29], v[64:65], v[28:29]                  // 000000005F80: D3B1401C 18023940
	v_pk_mul_f32 v[30:31], v[64:65], v[30:31]                  // 000000005F88: D3B1401E 18023D40
	v_mul_f32_dpp v28, v67, v28 row_newbcast:12 row_mask:0xf bank_mask:0xf// 000000005F90: 0A3838FA FF015C43
	v_mul_f32_dpp v29, v67, v29 row_newbcast:13 row_mask:0xf bank_mask:0xf// 000000005F98: 0A3A3AFA FF015D43
	v_mul_f32_dpp v30, v67, v30 row_newbcast:14 row_mask:0xf bank_mask:0xf// 000000005FA0: 0A3C3CFA FF015E43
	v_mul_f32_dpp v31, v67, v31 row_newbcast:15 row_mask:0xf bank_mask:0xf// 000000005FA8: 0A3E3EFA FF015F43
	buffer_load_dwordx4 a[16:19], v108, s[12:15], 0 offen offset:2048// 000000005FB0: E05C1800 8083106C
	v_mov_b32_e32 v92, v16                                     // 000000005FB8: 7EB80310
	v_max3_f32 v92, v16, v17, v92                              // 000000005FBC: D1D3005C 05722310
	v_max3_f32 v92, v18, v19, v92                              // 000000005FC4: D1D3005C 05722712
	v_max3_f32 v92, v20, v21, v92                              // 000000005FCC: D1D3005C 05722B14
	v_max3_f32 v92, v22, v23, v92                              // 000000005FD4: D1D3005C 05722F16
	v_max3_f32 v92, v24, v25, v92                              // 000000005FDC: D1D3005C 05723318
	v_max3_f32 v92, v26, v27, v92                              // 000000005FE4: D1D3005C 0572371A
	v_max3_f32 v92, v28, v29, v92                              // 000000005FEC: D1D3005C 05723B1C
	v_max3_f32 v92, v30, v31, v92                              // 000000005FF4: D1D3005C 05723F1E
	ds_write_b32 v122, v92                                     // 000000005FFC: D81A0000 00005C7A
	v_pk_mul_f32 v[56:57], v[94:95], v[56:57]                  // 000000006004: D3B14038 1802715E
	v_pk_mul_f32 v[58:59], v[94:95], v[58:59]                  // 00000000600C: D3B1403A 1802755E
	v_pk_mul_f32 v[60:61], v[94:95], v[60:61]                  // 000000006014: D3B1403C 1802795E
	v_pk_mul_f32 v[62:63], v[94:95], v[62:63]                  // 00000000601C: D3B1403E 18027D5E
	buffer_load_dwordx4 a[20:23], v109, s[12:15], 0 offen offset:2048// 000000006024: E05C1800 8083146D
	s_waitcnt lgkmcnt(0)                                       // 00000000602C: BF8CC07F
	s_barrier                                                  // 000000006030: BF8A0000
	v_pk_mul_f32 v[48:49], v[70:71], v[48:49]                  // 000000006034: D3B14030 18026146
	v_pk_mul_f32 v[50:51], v[70:71], v[50:51]                  // 00000000603C: D3B14032 18026546
	v_pk_mul_f32 v[52:53], v[70:71], v[52:53]                  // 000000006044: D3B14034 18026946
	v_pk_mul_f32 v[54:55], v[70:71], v[54:55]                  // 00000000604C: D3B14036 18026D46
	buffer_load_dwordx4 a[24:27], v108, s[12:15], 0 offen offset:3072// 000000006054: E05C1C00 8083186C
	ds_read_b32 v76, v123                                      // 00000000605C: D86C0000 4C00007B
	ds_read_b32 v77, v123 offset:64                            // 000000006064: D86C0040 4D00007B
	ds_read_b32 v78, v123 offset:128                           // 00000000606C: D86C0080 4E00007B
	ds_read_b32 v79, v123 offset:192                           // 000000006074: D86C00C0 4F00007B
	ds_read_b32 v80, v123 offset:256                           // 00000000607C: D86C0100 5000007B
	ds_read_b32 v81, v123 offset:320                           // 000000006084: D86C0140 5100007B
	ds_read_b32 v82, v123 offset:384                           // 00000000608C: D86C0180 5200007B
	ds_read_b32 v83, v123 offset:448                           // 000000006094: D86C01C0 5300007B
	ds_read_b32 v84, v123 offset:512                           // 00000000609C: D86C0200 5400007B
	ds_read_b32 v85, v123 offset:576                           // 0000000060A4: D86C0240 5500007B
	ds_read_b32 v86, v123 offset:640                           // 0000000060AC: D86C0280 5600007B
	ds_read_b32 v87, v123 offset:704                           // 0000000060B4: D86C02C0 5700007B
	ds_read_b32 v88, v123 offset:768                           // 0000000060BC: D86C0300 5800007B
	ds_read_b32 v89, v123 offset:832                           // 0000000060C4: D86C0340 5900007B
	ds_read_b32 v90, v123 offset:896                           // 0000000060CC: D86C0380 5A00007B
	ds_read_b32 v91, v123 offset:960                           // 0000000060D4: D86C03C0 5B00007B
	buffer_load_dwordx4 a[28:31], v109, s[12:15], 0 offen offset:3072// 0000000060DC: E05C1C00 80831C6D
	s_waitcnt lgkmcnt(0)                                       // 0000000060E4: BF8CC07F
	v_max3_f32 v92, v76, v77, v92                              // 0000000060E8: D1D3005C 05729B4C
	v_max3_f32 v92, v78, v79, v92                              // 0000000060F0: D1D3005C 05729F4E
	v_max3_f32 v92, v80, v81, v92                              // 0000000060F8: D1D3005C 0572A350
	v_max3_f32 v92, v82, v83, v92                              // 000000006100: D1D3005C 0572A752
	v_max3_f32 v92, v84, v85, v92                              // 000000006108: D1D3005C 0572AB54
	v_max3_f32 v92, v86, v87, v92                              // 000000006110: D1D3005C 0572AF56
	v_max3_f32 v92, v88, v89, v92                              // 000000006118: D1D3005C 0572B358
	v_max3_f32 v92, v90, v91, v92                              // 000000006120: D1D3005C 0572B75A
	v_max_f32_e32 v97, v92, v96                                // 000000006128: 16C2C15C
	v_mul_f32_e64 v72, -s51, v97                               // 00000000612C: D1050048 2002C233
	v_mov_b32_e32 v73, v72                                     // 000000006134: 7E920348
	v_pk_fma_f32 v[16:17], v[16:17], s[86:87], v[72:73]        // 000000006138: D3B04010 1D20AD10
	v_pk_fma_f32 v[18:19], v[18:19], s[86:87], v[72:73]        // 000000006140: D3B04012 1D20AD12
	v_exp_f32_e32 v16, v16                                     // 000000006148: 7E204110
	v_exp_f32_e32 v17, v17                                     // 00000000614C: 7E224111
	v_exp_f32_e32 v18, v18                                     // 000000006150: 7E244112
	v_exp_f32_e32 v19, v19                                     // 000000006154: 7E264113
	v_pk_fma_f32 v[20:21], v[20:21], s[86:87], v[72:73]        // 000000006158: D3B04014 1D20AD14
	v_pk_fma_f32 v[22:23], v[22:23], s[86:87], v[72:73]        // 000000006160: D3B04016 1D20AD16
	v_exp_f32_e32 v20, v20                                     // 000000006168: 7E284114
	v_exp_f32_e32 v21, v21                                     // 00000000616C: 7E2A4115
	v_exp_f32_e32 v22, v22                                     // 000000006170: 7E2C4116
	v_exp_f32_e32 v23, v23                                     // 000000006174: 7E2E4117
	v_pk_fma_f32 v[24:25], v[24:25], s[86:87], v[72:73]        // 000000006178: D3B04018 1D20AD18
	v_pk_fma_f32 v[26:27], v[26:27], s[86:87], v[72:73]        // 000000006180: D3B0401A 1D20AD1A
	v_exp_f32_e32 v24, v24                                     // 000000006188: 7E304118
	v_exp_f32_e32 v25, v25                                     // 00000000618C: 7E324119
	v_exp_f32_e32 v26, v26                                     // 000000006190: 7E34411A
	v_exp_f32_e32 v27, v27                                     // 000000006194: 7E36411B
	v_pk_fma_f32 v[28:29], v[28:29], s[86:87], v[72:73]        // 000000006198: D3B0401C 1D20AD1C
	v_pk_fma_f32 v[30:31], v[30:31], s[86:87], v[72:73]        // 0000000061A0: D3B0401E 1D20AD1E
	v_exp_f32_e32 v28, v28                                     // 0000000061A8: 7E38411C
	v_exp_f32_e32 v29, v29                                     // 0000000061AC: 7E3A411D
	v_exp_f32_e32 v30, v30                                     // 0000000061B0: 7E3C411E
	v_exp_f32_e32 v31, v31                                     // 0000000061B4: 7E3E411F
	v_mul_f32_dpp v32, v69, v16 row_newbcast:0 row_mask:0xf bank_mask:0xf// 0000000061B8: 0A4020FA FF015045
	v_mul_f32_dpp v33, v69, v17 row_newbcast:1 row_mask:0xf bank_mask:0xf// 0000000061C0: 0A4222FA FF015145
	v_mul_f32_dpp v34, v69, v18 row_newbcast:2 row_mask:0xf bank_mask:0xf// 0000000061C8: 0A4424FA FF015245
	v_mul_f32_dpp v35, v69, v19 row_newbcast:3 row_mask:0xf bank_mask:0xf// 0000000061D0: 0A4626FA FF015345
	v_mul_f32_dpp v36, v69, v20 row_newbcast:4 row_mask:0xf bank_mask:0xf// 0000000061D8: 0A4828FA FF015445
	v_mul_f32_dpp v37, v69, v21 row_newbcast:5 row_mask:0xf bank_mask:0xf// 0000000061E0: 0A4A2AFA FF015545
	v_mul_f32_dpp v38, v69, v22 row_newbcast:6 row_mask:0xf bank_mask:0xf// 0000000061E8: 0A4C2CFA FF015645
	v_mul_f32_dpp v39, v69, v23 row_newbcast:7 row_mask:0xf bank_mask:0xf// 0000000061F0: 0A4E2EFA FF015745
	v_mul_f32_dpp v40, v69, v24 row_newbcast:8 row_mask:0xf bank_mask:0xf// 0000000061F8: 0A5030FA FF015845
	v_mul_f32_dpp v41, v69, v25 row_newbcast:9 row_mask:0xf bank_mask:0xf// 000000006200: 0A5232FA FF015945
	v_mul_f32_dpp v42, v69, v26 row_newbcast:10 row_mask:0xf bank_mask:0xf// 000000006208: 0A5434FA FF015A45
	v_mul_f32_dpp v43, v69, v27 row_newbcast:11 row_mask:0xf bank_mask:0xf// 000000006210: 0A5636FA FF015B45
	v_mul_f32_dpp v44, v69, v28 row_newbcast:12 row_mask:0xf bank_mask:0xf// 000000006218: 0A5838FA FF015C45
	v_mul_f32_dpp v45, v69, v29 row_newbcast:13 row_mask:0xf bank_mask:0xf// 000000006220: 0A5A3AFA FF015D45
	v_mul_f32_dpp v46, v69, v30 row_newbcast:14 row_mask:0xf bank_mask:0xf// 000000006228: 0A5C3CFA FF015E45
	v_mul_f32_dpp v47, v69, v31 row_newbcast:15 row_mask:0xf bank_mask:0xf// 000000006230: 0A5E3EFA FF015F45
	v_mov_b32_e32 v92, 0x358637bd                              // 000000006238: 7EB802FF 358637BD
	v_max3_f32 v92, |v32|, |v33|, v92                          // 000000006240: D1D3035C 05724320
	v_max3_f32 v92, |v34|, |v35|, v92                          // 000000006248: D1D3035C 05724722
	v_max3_f32 v92, |v36|, |v37|, v92                          // 000000006250: D1D3035C 05724B24
	v_max3_f32 v92, |v38|, |v39|, v92                          // 000000006258: D1D3035C 05724F26
	v_max3_f32 v92, |v40|, |v41|, v92                          // 000000006260: D1D3035C 05725328
	v_max3_f32 v92, |v42|, |v43|, v92                          // 000000006268: D1D3035C 0572572A
	v_max3_f32 v92, |v44|, |v45|, v92                          // 000000006270: D1D3035C 05725B2C
	v_max3_f32 v92, |v46|, |v47|, v92                          // 000000006278: D1D3035C 05725F2E
	ds_write_b32 v122, v92 offset:1280                         // 000000006280: D81A0500 00005C7A
	buffer_load_dword v66, v114, s[28:31], 0 offen             // 000000006288: E0501000 80074272
	v_sub_f32_e32 v94, v96, v97                                // 000000006290: 04BCC360
	v_cmp_eq_u32_e64 s[84:85], v105, v96                       // 000000006294: D0CA0054 0002C169
	s_nop 0                                                    // 00000000629C: BF800000
	v_cndmask_b32_e64 v94, v94, 0, s[84:85]                    // 0000000062A0: D100005E 0151015E
	v_mov_b32_e32 v96, v97                                     // 0000000062A8: 7EC00361
	v_mul_f32_e32 v94, s51, v94                                // 0000000062AC: 0ABCBC33
	v_exp_f32_e32 v94, v94                                     // 0000000062B0: 7EBC415E
	s_nop 0                                                    // 0000000062B4: BF800000
	v_mov_b32_e32 v95, v94                                     // 0000000062B8: 7EBE035E
	buffer_load_dword v68, v115, s[32:35], 0 offen             // 0000000062BC: E0501000 80084473
	s_waitcnt lgkmcnt(0)                                       // 0000000062C4: BF8CC07F
	s_barrier                                                  // 0000000062C8: BF8A0000
	v_mul_f32_e32 v98, v94, v98                                // 0000000062CC: 0AC4C55E
	v_add_f32_e32 v98, v16, v98                                // 0000000062D0: 02C4C510
	v_add_f32_e32 v98, v17, v98                                // 0000000062D4: 02C4C511
	v_add_f32_e32 v98, v18, v98                                // 0000000062D8: 02C4C512
	v_add_f32_e32 v98, v19, v98                                // 0000000062DC: 02C4C513
	v_add_f32_e32 v98, v20, v98                                // 0000000062E0: 02C4C514
	v_add_f32_e32 v98, v21, v98                                // 0000000062E4: 02C4C515
	v_add_f32_e32 v98, v22, v98                                // 0000000062E8: 02C4C516
	v_add_f32_e32 v98, v23, v98                                // 0000000062EC: 02C4C517
	v_add_f32_e32 v98, v24, v98                                // 0000000062F0: 02C4C518
	v_add_f32_e32 v98, v25, v98                                // 0000000062F4: 02C4C519
	v_add_f32_e32 v98, v26, v98                                // 0000000062F8: 02C4C51A
	v_add_f32_e32 v98, v27, v98                                // 0000000062FC: 02C4C51B
	v_add_f32_e32 v98, v28, v98                                // 000000006300: 02C4C51C
	v_add_f32_e32 v98, v29, v98                                // 000000006304: 02C4C51D
	v_add_f32_e32 v98, v30, v98                                // 000000006308: 02C4C51E
	v_add_f32_e32 v98, v31, v98                                // 00000000630C: 02C4C51F
	buffer_load_dwordx4 a[68:71], v111, s[16:19], 0 offen      // 000000006310: E05C1000 8084446F
	ds_read_b32 v76, v123 offset:1280                          // 000000006318: D86C0500 4C00007B
	ds_read_b32 v77, v123 offset:1344                          // 000000006320: D86C0540 4D00007B
	ds_read_b32 v78, v123 offset:1408                          // 000000006328: D86C0580 4E00007B
	ds_read_b32 v79, v123 offset:1472                          // 000000006330: D86C05C0 4F00007B
	ds_read_b32 v80, v123 offset:1536                          // 000000006338: D86C0600 5000007B
	ds_read_b32 v81, v123 offset:1600                          // 000000006340: D86C0640 5100007B
	ds_read_b32 v82, v123 offset:1664                          // 000000006348: D86C0680 5200007B
	ds_read_b32 v83, v123 offset:1728                          // 000000006350: D86C06C0 5300007B
	ds_read_b32 v84, v123 offset:1792                          // 000000006358: D86C0700 5400007B
	ds_read_b32 v85, v123 offset:1856                          // 000000006360: D86C0740 5500007B
	ds_read_b32 v86, v123 offset:1920                          // 000000006368: D86C0780 5600007B
	ds_read_b32 v87, v123 offset:1984                          // 000000006370: D86C07C0 5700007B
	ds_read_b32 v88, v123 offset:2048                          // 000000006378: D86C0800 5800007B
	ds_read_b32 v89, v123 offset:2112                          // 000000006380: D86C0840 5900007B
	ds_read_b32 v90, v123 offset:2176                          // 000000006388: D86C0880 5A00007B
	ds_read_b32 v91, v123 offset:2240                          // 000000006390: D86C08C0 5B00007B
	buffer_load_dwordx4 a[64:67], v110, s[16:19], 0 offen      // 000000006398: E05C1000 8084406E
	s_waitcnt lgkmcnt(0)                                       // 0000000063A0: BF8CC07F
	v_max3_f32 v92, v76, v77, v92                              // 0000000063A4: D1D3005C 05729B4C
	v_max3_f32 v92, v78, v79, v92                              // 0000000063AC: D1D3005C 05729F4E
	v_max3_f32 v92, v80, v81, v92                              // 0000000063B4: D1D3005C 0572A350
	v_max3_f32 v92, v82, v83, v92                              // 0000000063BC: D1D3005C 0572A752
	v_max3_f32 v92, v84, v85, v92                              // 0000000063C4: D1D3005C 0572AB54
	v_max3_f32 v92, v86, v87, v92                              // 0000000063CC: D1D3005C 0572AF56
	v_max3_f32 v92, v88, v89, v92                              // 0000000063D4: D1D3005C 0572B358
	v_max3_f32 v92, v90, v91, v92                              // 0000000063DC: D1D3005C 0572B75A
	v_rcp_f32_e32 v92, v92                                     // 0000000063E4: 7EB8455C
	s_nop 0                                                    // 0000000063E8: BF800000
	v_mul_f32_e32 v92, 0x43700000, v92                         // 0000000063EC: 0AB8B8FF 43700000
	v_mov_b32_e32 v93, v92                                     // 0000000063F4: 7EBA035C
	v_pk_mul_f32 v[16:17], v[92:93], v[32:33]                  // 0000000063F8: D3B14010 1802415C
	v_pk_mul_f32 v[18:19], v[92:93], v[34:35]                  // 000000006400: D3B14012 1802455C
	v_pk_mul_f32 v[20:21], v[92:93], v[36:37]                  // 000000006408: D3B14014 1802495C
	v_pk_mul_f32 v[22:23], v[92:93], v[38:39]                  // 000000006410: D3B14016 18024D5C
	v_pk_mul_f32 v[24:25], v[92:93], v[40:41]                  // 000000006418: D3B14018 1802515C
	v_pk_mul_f32 v[26:27], v[92:93], v[42:43]                  // 000000006420: D3B1401A 1802555C
	v_pk_mul_f32 v[28:29], v[92:93], v[44:45]                  // 000000006428: D3B1401C 1802595C
	v_pk_mul_f32 v[30:31], v[92:93], v[46:47]                  // 000000006430: D3B1401E 18025D5C
	v_cvt_pk_fp8_f32 v16, v16, v17                             // 000000006438: D2A20010 00022310
	v_cvt_pk_fp8_f32 v16, v18, v19 op_sel:[0,0,1]              // 000000006440: D2A24010 00022712
	v_cvt_pk_fp8_f32 v17, v20, v21                             // 000000006448: D2A20011 00022B14
	v_cvt_pk_fp8_f32 v17, v22, v23 op_sel:[0,0,1]              // 000000006450: D2A24011 00022F16
	v_cvt_pk_fp8_f32 v18, v24, v25                             // 000000006458: D2A20012 00023318
	v_cvt_pk_fp8_f32 v18, v26, v27 op_sel:[0,0,1]              // 000000006460: D2A24012 0002371A
	v_cvt_pk_fp8_f32 v19, v28, v29                             // 000000006468: D2A20013 00023B1C
	v_cvt_pk_fp8_f32 v19, v30, v31 op_sel:[0,0,1]              // 000000006470: D2A24013 00023F1E
	ds_write_b32 v124, v16 offset:2560                         // 000000006478: D81A0A00 0000107C
	ds_write_b32 v124, v17 offset:3584                         // 000000006480: D81A0E00 0000117C
	ds_write_b32 v124, v18 offset:4608                         // 000000006488: D81A1200 0000127C
	ds_write_b32 v124, v19 offset:5632                         // 000000006490: D81A1600 0000137C
	v_rcp_f32_e32 v70, v92                                     // 000000006498: 7E8C455C
	s_nop 0                                                    // 00000000649C: BF800000
	v_mov_b32_e32 v71, v70                                     // 0000000064A0: 7E8E0346
	buffer_load_dwordx4 a[72:75], v112, s[16:19], 0 offen      // 0000000064A4: E05C1000 80844870
	v_pk_add_f32 v[56:57], v[56:57], v[48:49]                  // 0000000064AC: D3B24038 18026138
	v_pk_add_f32 v[58:59], v[58:59], v[50:51]                  // 0000000064B4: D3B2403A 1802653A
	v_pk_add_f32 v[60:61], v[60:61], v[52:53]                  // 0000000064BC: D3B2403C 1802693C
	v_pk_add_f32 v[62:63], v[62:63], v[54:55]                  // 0000000064C4: D3B2403E 18026D3E
	s_waitcnt lgkmcnt(0)                                       // 0000000064CC: BF8CC07F
	s_barrier                                                  // 0000000064D0: BF8A0000
	ds_read_b128 v[16:19], v125 offset:2560                    // 0000000064D4: D9FE0A00 1000007D
	ds_read_b128 v[20:23], v125 offset:3584                    // 0000000064DC: D9FE0E00 1400007D
	ds_read_b128 v[24:27], v125 offset:4608                    // 0000000064E4: D9FE1200 1800007D
	ds_read_b128 v[28:31], v125 offset:5632                    // 0000000064EC: D9FE1600 1C00007D
	buffer_load_dwordx4 a[76:79], v113, s[16:19], 0 offen      // 0000000064F4: E05C1000 80844C71
	s_waitcnt vmcnt(14)                                        // 0000000064FC: BF8C0F7E
	s_waitcnt lgkmcnt(3)                                       // 000000006500: BF8CC37F
	v_mfma_f32_16x16x32_fp8_fp8 v[48:51], a[96:97], v[16:17], 0// 000000006504: D3F30030 0A022160
	v_mfma_f32_16x16x32_fp8_fp8 v[52:55], a[112:113], v[16:17], 0// 00000000650C: D3F30034 0A022170
	v_mfma_f32_16x16x32_fp8_fp8 v[48:51], a[98:99], v[18:19], v[48:51]// 000000006514: D3F30030 0CC22562
	v_mfma_f32_16x16x32_fp8_fp8 v[52:55], a[114:115], v[18:19], v[52:55]// 00000000651C: D3F30034 0CD22572
	buffer_load_dwordx4 a[80:83], v110, s[16:19], 0 offen offset:1024// 000000006524: E05C1400 8084506E
	s_waitcnt lgkmcnt(2)                                       // 00000000652C: BF8CC27F
	v_mfma_f32_16x16x32_fp8_fp8 v[48:51], a[100:101], v[20:21], v[48:51]// 000000006530: D3F30030 0CC22964
	v_mfma_f32_16x16x32_fp8_fp8 v[52:55], a[116:117], v[20:21], v[52:55]// 000000006538: D3F30034 0CD22974
	v_mfma_f32_16x16x32_fp8_fp8 v[48:51], a[102:103], v[22:23], v[48:51]// 000000006540: D3F30030 0CC22D66
	v_mfma_f32_16x16x32_fp8_fp8 v[52:55], a[118:119], v[22:23], v[52:55]// 000000006548: D3F30034 0CD22D76
	buffer_load_dwordx4 a[84:87], v111, s[16:19], 0 offen offset:1024// 000000006550: E05C1400 8084546F
	s_waitcnt lgkmcnt(1)                                       // 000000006558: BF8CC17F
	v_mfma_f32_16x16x32_fp8_fp8 v[48:51], a[104:105], v[24:25], v[48:51]// 00000000655C: D3F30030 0CC23168
	v_mfma_f32_16x16x32_fp8_fp8 v[52:55], a[120:121], v[24:25], v[52:55]// 000000006564: D3F30034 0CD23178
	v_mfma_f32_16x16x32_fp8_fp8 v[48:51], a[106:107], v[26:27], v[48:51]// 00000000656C: D3F30030 0CC2356A
	v_mfma_f32_16x16x32_fp8_fp8 v[52:55], a[122:123], v[26:27], v[52:55]// 000000006574: D3F30034 0CD2357A
	buffer_load_dwordx4 a[88:91], v112, s[16:19], 0 offen offset:1024// 00000000657C: E05C1400 80845870
	s_waitcnt lgkmcnt(0)                                       // 000000006584: BF8CC07F
	v_mfma_f32_16x16x32_fp8_fp8 v[48:51], a[108:109], v[28:29], v[48:51]// 000000006588: D3F30030 0CC2396C
	v_mfma_f32_16x16x32_fp8_fp8 v[52:55], a[124:125], v[28:29], v[52:55]// 000000006590: D3F30034 0CD2397C
	v_mfma_f32_16x16x32_fp8_fp8 v[48:51], a[110:111], v[30:31], v[48:51]// 000000006598: D3F30030 0CC23D6E
	v_mfma_f32_16x16x32_fp8_fp8 v[52:55], a[126:127], v[30:31], v[52:55]// 0000000065A0: D3F30034 0CD23D7E
	buffer_load_dwordx4 a[92:95], v113, s[16:19], 0 offen offset:1024// 0000000065A8: E05C1400 80845C71
	s_addk_i32 s49, 0x100                                      // 0000000065B0: B7310100
	s_branch label_097D                                        // 0000000065B4: BF82F84F

00000000000065b8 <label_112E>:
	s_waitcnt vmcnt(10)                                        // 0000000065B8: BF8C0F7A
	v_mfma_f32_16x16x32_fp8_fp8 v[16:19], a[0:1], v[8:9], 0    // 0000000065BC: D3F30010 0A021100
	v_mfma_f32_16x16x32_fp8_fp8 v[16:19], a[2:3], v[10:11], v[16:19]// 0000000065C4: D3F30010 0C421502
	v_mfma_f32_16x16x32_fp8_fp8 v[16:19], a[4:5], v[12:13], v[16:19]// 0000000065CC: D3F30010 0C421904
	v_mfma_f32_16x16x32_fp8_fp8 v[16:19], a[6:7], v[14:15], v[16:19]// 0000000065D4: D3F30010 0C421D06
	v_mfma_f32_16x16x32_fp8_fp8 v[20:23], a[8:9], v[8:9], 0    // 0000000065DC: D3F30014 0A021108
	v_mfma_f32_16x16x32_fp8_fp8 v[20:23], a[10:11], v[10:11], v[20:23]// 0000000065E4: D3F30014 0C52150A
	v_mfma_f32_16x16x32_fp8_fp8 v[20:23], a[12:13], v[12:13], v[20:23]// 0000000065EC: D3F30014 0C52190C
	v_mfma_f32_16x16x32_fp8_fp8 v[20:23], a[14:15], v[14:15], v[20:23]// 0000000065F4: D3F30014 0C521D0E
	v_mfma_f32_16x16x32_fp8_fp8 v[24:27], a[16:17], v[8:9], 0  // 0000000065FC: D3F30018 0A021110
	v_mfma_f32_16x16x32_fp8_fp8 v[24:27], a[18:19], v[10:11], v[24:27]// 000000006604: D3F30018 0C621512
	v_mfma_f32_16x16x32_fp8_fp8 v[24:27], a[20:21], v[12:13], v[24:27]// 00000000660C: D3F30018 0C621914
	v_mfma_f32_16x16x32_fp8_fp8 v[24:27], a[22:23], v[14:15], v[24:27]// 000000006614: D3F30018 0C621D16
	v_mfma_f32_16x16x32_fp8_fp8 v[28:31], a[24:25], v[8:9], 0  // 00000000661C: D3F3001C 0A021118
	v_mfma_f32_16x16x32_fp8_fp8 v[28:31], a[26:27], v[10:11], v[28:31]// 000000006624: D3F3001C 0C72151A
	v_mfma_f32_16x16x32_fp8_fp8 v[28:31], a[28:29], v[12:13], v[28:31]// 00000000662C: D3F3001C 0C72191C
	v_mfma_f32_16x16x32_fp8_fp8 v[28:31], a[30:31], v[14:15], v[28:31]// 000000006634: D3F3001C 0C721D1E
	s_waitcnt vmcnt(8)                                         // 00000000663C: BF8C0F78
	v_pk_mul_f32 v[16:17], v[64:65], v[16:17]                  // 000000006640: D3B14010 18022140
	v_pk_mul_f32 v[18:19], v[64:65], v[18:19]                  // 000000006648: D3B14012 18022540
	v_mul_f32_dpp v16, v66, v16 row_newbcast:0 row_mask:0xf bank_mask:0xf// 000000006650: 0A2020FA FF015042
	v_mul_f32_dpp v17, v66, v17 row_newbcast:1 row_mask:0xf bank_mask:0xf// 000000006658: 0A2222FA FF015142
	v_mul_f32_dpp v18, v66, v18 row_newbcast:2 row_mask:0xf bank_mask:0xf// 000000006660: 0A2424FA FF015242
	v_mul_f32_dpp v19, v66, v19 row_newbcast:3 row_mask:0xf bank_mask:0xf// 000000006668: 0A2626FA FF015342
	v_pk_mul_f32 v[20:21], v[64:65], v[20:21]                  // 000000006670: D3B14014 18022940
	v_pk_mul_f32 v[22:23], v[64:65], v[22:23]                  // 000000006678: D3B14016 18022D40
	v_mul_f32_dpp v20, v66, v20 row_newbcast:4 row_mask:0xf bank_mask:0xf// 000000006680: 0A2828FA FF015442
	v_mul_f32_dpp v21, v66, v21 row_newbcast:5 row_mask:0xf bank_mask:0xf// 000000006688: 0A2A2AFA FF015542
	v_mul_f32_dpp v22, v66, v22 row_newbcast:6 row_mask:0xf bank_mask:0xf// 000000006690: 0A2C2CFA FF015642
	v_mul_f32_dpp v23, v66, v23 row_newbcast:7 row_mask:0xf bank_mask:0xf// 000000006698: 0A2E2EFA FF015742
	v_pk_mul_f32 v[24:25], v[64:65], v[24:25]                  // 0000000066A0: D3B14018 18023140
	v_pk_mul_f32 v[26:27], v[64:65], v[26:27]                  // 0000000066A8: D3B1401A 18023540
	v_mul_f32_dpp v24, v66, v24 row_newbcast:8 row_mask:0xf bank_mask:0xf// 0000000066B0: 0A3030FA FF015842
	v_mul_f32_dpp v25, v66, v25 row_newbcast:9 row_mask:0xf bank_mask:0xf// 0000000066B8: 0A3232FA FF015942
	v_mul_f32_dpp v26, v66, v26 row_newbcast:10 row_mask:0xf bank_mask:0xf// 0000000066C0: 0A3434FA FF015A42
	v_mul_f32_dpp v27, v66, v27 row_newbcast:11 row_mask:0xf bank_mask:0xf// 0000000066C8: 0A3636FA FF015B42
	v_pk_mul_f32 v[28:29], v[64:65], v[28:29]                  // 0000000066D0: D3B1401C 18023940
	v_pk_mul_f32 v[30:31], v[64:65], v[30:31]                  // 0000000066D8: D3B1401E 18023D40
	v_mul_f32_dpp v28, v66, v28 row_newbcast:12 row_mask:0xf bank_mask:0xf// 0000000066E0: 0A3838FA FF015C42
	v_mul_f32_dpp v29, v66, v29 row_newbcast:13 row_mask:0xf bank_mask:0xf// 0000000066E8: 0A3A3AFA FF015D42
	v_mul_f32_dpp v30, v66, v30 row_newbcast:14 row_mask:0xf bank_mask:0xf// 0000000066F0: 0A3C3CFA FF015E42
	v_mul_f32_dpp v31, v66, v31 row_newbcast:15 row_mask:0xf bank_mask:0xf// 0000000066F8: 0A3E3EFA FF015F42
	v_add_u32_e32 v72, s49, v104                               // 000000006700: 6890D031
	v_add_u32_e32 v73, 0, v72                                  // 000000006704: 68929080
	v_cmp_lt_u32_e64 s[84:85], v73, v103                       // 000000006708: D0C90054 0002CF49
	s_nop 0                                                    // 000000006710: BF800000
	v_cndmask_b32_e64 v16, v105, v16, s[84:85]                 // 000000006714: D1000010 01522169
	v_add_u32_e32 v73, 1, v72                                  // 00000000671C: 68929081
	v_cmp_lt_u32_e64 s[84:85], v73, v103                       // 000000006720: D0C90054 0002CF49
	s_nop 0                                                    // 000000006728: BF800000
	v_cndmask_b32_e64 v17, v105, v17, s[84:85]                 // 00000000672C: D1000011 01522369
	v_add_u32_e32 v73, 2, v72                                  // 000000006734: 68929082
	v_cmp_lt_u32_e64 s[84:85], v73, v103                       // 000000006738: D0C90054 0002CF49
	s_nop 0                                                    // 000000006740: BF800000
	v_cndmask_b32_e64 v18, v105, v18, s[84:85]                 // 000000006744: D1000012 01522569
	v_add_u32_e32 v73, 3, v72                                  // 00000000674C: 68929083
	v_cmp_lt_u32_e64 s[84:85], v73, v103                       // 000000006750: D0C90054 0002CF49
	s_nop 0                                                    // 000000006758: BF800000
	v_cndmask_b32_e64 v19, v105, v19, s[84:85]                 // 00000000675C: D1000013 01522769
	v_add_u32_e32 v73, 64, v72                                 // 000000006764: 689290C0
	v_cmp_lt_u32_e64 s[84:85], v73, v103                       // 000000006768: D0C90054 0002CF49
	s_nop 0                                                    // 000000006770: BF800000
	v_cndmask_b32_e64 v20, v105, v20, s[84:85]                 // 000000006774: D1000014 01522969
	v_add_u32_e32 v73, 0x41, v72                               // 00000000677C: 689290FF 00000041
	v_cmp_lt_u32_e64 s[84:85], v73, v103                       // 000000006784: D0C90054 0002CF49
	s_nop 0                                                    // 00000000678C: BF800000
	v_cndmask_b32_e64 v21, v105, v21, s[84:85]                 // 000000006790: D1000015 01522B69
	v_add_u32_e32 v73, 0x42, v72                               // 000000006798: 689290FF 00000042
	v_cmp_lt_u32_e64 s[84:85], v73, v103                       // 0000000067A0: D0C90054 0002CF49
	s_nop 0                                                    // 0000000067A8: BF800000
	v_cndmask_b32_e64 v22, v105, v22, s[84:85]                 // 0000000067AC: D1000016 01522D69
	v_add_u32_e32 v73, 0x43, v72                               // 0000000067B4: 689290FF 00000043
	v_cmp_lt_u32_e64 s[84:85], v73, v103                       // 0000000067BC: D0C90054 0002CF49
	s_nop 0                                                    // 0000000067C4: BF800000
	v_cndmask_b32_e64 v23, v105, v23, s[84:85]                 // 0000000067C8: D1000017 01522F69
	v_add_u32_e32 v73, 0x80, v72                               // 0000000067D0: 689290FF 00000080
	v_cmp_lt_u32_e64 s[84:85], v73, v103                       // 0000000067D8: D0C90054 0002CF49
	s_nop 0                                                    // 0000000067E0: BF800000
	v_cndmask_b32_e64 v24, v105, v24, s[84:85]                 // 0000000067E4: D1000018 01523169
	v_add_u32_e32 v73, 0x81, v72                               // 0000000067EC: 689290FF 00000081
	v_cmp_lt_u32_e64 s[84:85], v73, v103                       // 0000000067F4: D0C90054 0002CF49
	s_nop 0                                                    // 0000000067FC: BF800000
	v_cndmask_b32_e64 v25, v105, v25, s[84:85]                 // 000000006800: D1000019 01523369
	v_add_u32_e32 v73, 0x82, v72                               // 000000006808: 689290FF 00000082
	v_cmp_lt_u32_e64 s[84:85], v73, v103                       // 000000006810: D0C90054 0002CF49
	s_nop 0                                                    // 000000006818: BF800000
	v_cndmask_b32_e64 v26, v105, v26, s[84:85]                 // 00000000681C: D100001A 01523569
	v_add_u32_e32 v73, 0x83, v72                               // 000000006824: 689290FF 00000083
	v_cmp_lt_u32_e64 s[84:85], v73, v103                       // 00000000682C: D0C90054 0002CF49
	s_nop 0                                                    // 000000006834: BF800000
	v_cndmask_b32_e64 v27, v105, v27, s[84:85]                 // 000000006838: D100001B 01523769
	v_add_u32_e32 v73, 0xc0, v72                               // 000000006840: 689290FF 000000C0
	v_cmp_lt_u32_e64 s[84:85], v73, v103                       // 000000006848: D0C90054 0002CF49
	s_nop 0                                                    // 000000006850: BF800000
	v_cndmask_b32_e64 v28, v105, v28, s[84:85]                 // 000000006854: D100001C 01523969
	v_add_u32_e32 v73, 0xc1, v72                               // 00000000685C: 689290FF 000000C1
	v_cmp_lt_u32_e64 s[84:85], v73, v103                       // 000000006864: D0C90054 0002CF49
	s_nop 0                                                    // 00000000686C: BF800000
	v_cndmask_b32_e64 v29, v105, v29, s[84:85]                 // 000000006870: D100001D 01523B69
	v_add_u32_e32 v73, 0xc2, v72                               // 000000006878: 689290FF 000000C2
	v_cmp_lt_u32_e64 s[84:85], v73, v103                       // 000000006880: D0C90054 0002CF49
	s_nop 0                                                    // 000000006888: BF800000
	v_cndmask_b32_e64 v30, v105, v30, s[84:85]                 // 00000000688C: D100001E 01523D69
	v_add_u32_e32 v73, 0xc3, v72                               // 000000006894: 689290FF 000000C3
	v_cmp_lt_u32_e64 s[84:85], v73, v103                       // 00000000689C: D0C90054 0002CF49
	s_nop 0                                                    // 0000000068A4: BF800000
	v_cndmask_b32_e64 v31, v105, v31, s[84:85]                 // 0000000068A8: D100001F 01523F69
	v_mov_b32_e32 v92, v16                                     // 0000000068B0: 7EB80310
	v_max3_f32 v92, v16, v17, v92                              // 0000000068B4: D1D3005C 05722310
	v_max3_f32 v92, v18, v19, v92                              // 0000000068BC: D1D3005C 05722712
	v_max3_f32 v92, v20, v21, v92                              // 0000000068C4: D1D3005C 05722B14
	v_max3_f32 v92, v22, v23, v92                              // 0000000068CC: D1D3005C 05722F16
	v_max3_f32 v92, v24, v25, v92                              // 0000000068D4: D1D3005C 05723318
	v_max3_f32 v92, v26, v27, v92                              // 0000000068DC: D1D3005C 0572371A
	v_max3_f32 v92, v28, v29, v92                              // 0000000068E4: D1D3005C 05723B1C
	v_max3_f32 v92, v30, v31, v92                              // 0000000068EC: D1D3005C 05723F1E
	ds_write_b32 v122, v92                                     // 0000000068F4: D81A0000 00005C7A
	v_pk_mul_f32 v[56:57], v[94:95], v[56:57]                  // 0000000068FC: D3B14038 1802715E
	v_pk_mul_f32 v[58:59], v[94:95], v[58:59]                  // 000000006904: D3B1403A 1802755E
	v_pk_mul_f32 v[60:61], v[94:95], v[60:61]                  // 00000000690C: D3B1403C 1802795E
	v_pk_mul_f32 v[62:63], v[94:95], v[62:63]                  // 000000006914: D3B1403E 18027D5E
	s_waitcnt lgkmcnt(0)                                       // 00000000691C: BF8CC07F
	s_barrier                                                  // 000000006920: BF8A0000
	ds_read_b32 v76, v123                                      // 000000006924: D86C0000 4C00007B
	ds_read_b32 v77, v123 offset:64                            // 00000000692C: D86C0040 4D00007B
	ds_read_b32 v78, v123 offset:128                           // 000000006934: D86C0080 4E00007B
	ds_read_b32 v79, v123 offset:192                           // 00000000693C: D86C00C0 4F00007B
	ds_read_b32 v80, v123 offset:256                           // 000000006944: D86C0100 5000007B
	ds_read_b32 v81, v123 offset:320                           // 00000000694C: D86C0140 5100007B
	ds_read_b32 v82, v123 offset:384                           // 000000006954: D86C0180 5200007B
	ds_read_b32 v83, v123 offset:448                           // 00000000695C: D86C01C0 5300007B
	ds_read_b32 v84, v123 offset:512                           // 000000006964: D86C0200 5400007B
	ds_read_b32 v85, v123 offset:576                           // 00000000696C: D86C0240 5500007B
	ds_read_b32 v86, v123 offset:640                           // 000000006974: D86C0280 5600007B
	ds_read_b32 v87, v123 offset:704                           // 00000000697C: D86C02C0 5700007B
	ds_read_b32 v88, v123 offset:768                           // 000000006984: D86C0300 5800007B
	ds_read_b32 v89, v123 offset:832                           // 00000000698C: D86C0340 5900007B
	ds_read_b32 v90, v123 offset:896                           // 000000006994: D86C0380 5A00007B
	ds_read_b32 v91, v123 offset:960                           // 00000000699C: D86C03C0 5B00007B
	v_pk_mul_f32 v[48:49], v[70:71], v[48:49]                  // 0000000069A4: D3B14030 18026146
	v_pk_mul_f32 v[50:51], v[70:71], v[50:51]                  // 0000000069AC: D3B14032 18026546
	v_pk_mul_f32 v[52:53], v[70:71], v[52:53]                  // 0000000069B4: D3B14034 18026946
	v_pk_mul_f32 v[54:55], v[70:71], v[54:55]                  // 0000000069BC: D3B14036 18026D46
	s_waitcnt lgkmcnt(0)                                       // 0000000069C4: BF8CC07F
	v_max3_f32 v92, v76, v77, v92                              // 0000000069C8: D1D3005C 05729B4C
	v_max3_f32 v92, v78, v79, v92                              // 0000000069D0: D1D3005C 05729F4E
	v_max3_f32 v92, v80, v81, v92                              // 0000000069D8: D1D3005C 0572A350
	v_max3_f32 v92, v82, v83, v92                              // 0000000069E0: D1D3005C 0572A752
	v_max3_f32 v92, v84, v85, v92                              // 0000000069E8: D1D3005C 0572AB54
	v_max3_f32 v92, v86, v87, v92                              // 0000000069F0: D1D3005C 0572AF56
	v_max3_f32 v92, v88, v89, v92                              // 0000000069F8: D1D3005C 0572B358
	v_max3_f32 v92, v90, v91, v92                              // 000000006A00: D1D3005C 0572B75A
	v_max_f32_e32 v97, v92, v96                                // 000000006A08: 16C2C15C
	v_mul_f32_e64 v72, -s51, v97                               // 000000006A0C: D1050048 2002C233
	v_mov_b32_e32 v73, v72                                     // 000000006A14: 7E920348
	v_pk_fma_f32 v[16:17], v[16:17], s[86:87], v[72:73]        // 000000006A18: D3B04010 1D20AD10
	v_pk_fma_f32 v[18:19], v[18:19], s[86:87], v[72:73]        // 000000006A20: D3B04012 1D20AD12
	v_exp_f32_e32 v16, v16                                     // 000000006A28: 7E204110
	v_exp_f32_e32 v17, v17                                     // 000000006A2C: 7E224111
	v_exp_f32_e32 v18, v18                                     // 000000006A30: 7E244112
	v_exp_f32_e32 v19, v19                                     // 000000006A34: 7E264113
	v_pk_fma_f32 v[20:21], v[20:21], s[86:87], v[72:73]        // 000000006A38: D3B04014 1D20AD14
	v_pk_fma_f32 v[22:23], v[22:23], s[86:87], v[72:73]        // 000000006A40: D3B04016 1D20AD16
	v_exp_f32_e32 v20, v20                                     // 000000006A48: 7E284114
	v_exp_f32_e32 v21, v21                                     // 000000006A4C: 7E2A4115
	v_exp_f32_e32 v22, v22                                     // 000000006A50: 7E2C4116
	v_exp_f32_e32 v23, v23                                     // 000000006A54: 7E2E4117
	v_pk_fma_f32 v[24:25], v[24:25], s[86:87], v[72:73]        // 000000006A58: D3B04018 1D20AD18
	v_pk_fma_f32 v[26:27], v[26:27], s[86:87], v[72:73]        // 000000006A60: D3B0401A 1D20AD1A
	v_exp_f32_e32 v24, v24                                     // 000000006A68: 7E304118
	v_exp_f32_e32 v25, v25                                     // 000000006A6C: 7E324119
	v_exp_f32_e32 v26, v26                                     // 000000006A70: 7E34411A
	v_exp_f32_e32 v27, v27                                     // 000000006A74: 7E36411B
	v_pk_fma_f32 v[28:29], v[28:29], s[86:87], v[72:73]        // 000000006A78: D3B0401C 1D20AD1C
	v_pk_fma_f32 v[30:31], v[30:31], s[86:87], v[72:73]        // 000000006A80: D3B0401E 1D20AD1E
	v_exp_f32_e32 v28, v28                                     // 000000006A88: 7E38411C
	v_exp_f32_e32 v29, v29                                     // 000000006A8C: 7E3A411D
	v_exp_f32_e32 v30, v30                                     // 000000006A90: 7E3C411E
	v_exp_f32_e32 v31, v31                                     // 000000006A94: 7E3E411F
	v_mul_f32_dpp v32, v68, v16 row_newbcast:0 row_mask:0xf bank_mask:0xf// 000000006A98: 0A4020FA FF015044
	v_mul_f32_dpp v33, v68, v17 row_newbcast:1 row_mask:0xf bank_mask:0xf// 000000006AA0: 0A4222FA FF015144
	v_mul_f32_dpp v34, v68, v18 row_newbcast:2 row_mask:0xf bank_mask:0xf// 000000006AA8: 0A4424FA FF015244
	v_mul_f32_dpp v35, v68, v19 row_newbcast:3 row_mask:0xf bank_mask:0xf// 000000006AB0: 0A4626FA FF015344
	v_mul_f32_dpp v36, v68, v20 row_newbcast:4 row_mask:0xf bank_mask:0xf// 000000006AB8: 0A4828FA FF015444
	v_mul_f32_dpp v37, v68, v21 row_newbcast:5 row_mask:0xf bank_mask:0xf// 000000006AC0: 0A4A2AFA FF015544
	v_mul_f32_dpp v38, v68, v22 row_newbcast:6 row_mask:0xf bank_mask:0xf// 000000006AC8: 0A4C2CFA FF015644
	v_mul_f32_dpp v39, v68, v23 row_newbcast:7 row_mask:0xf bank_mask:0xf// 000000006AD0: 0A4E2EFA FF015744
	v_mul_f32_dpp v40, v68, v24 row_newbcast:8 row_mask:0xf bank_mask:0xf// 000000006AD8: 0A5030FA FF015844
	v_mul_f32_dpp v41, v68, v25 row_newbcast:9 row_mask:0xf bank_mask:0xf// 000000006AE0: 0A5232FA FF015944
	v_mul_f32_dpp v42, v68, v26 row_newbcast:10 row_mask:0xf bank_mask:0xf// 000000006AE8: 0A5434FA FF015A44
	v_mul_f32_dpp v43, v68, v27 row_newbcast:11 row_mask:0xf bank_mask:0xf// 000000006AF0: 0A5636FA FF015B44
	v_mul_f32_dpp v44, v68, v28 row_newbcast:12 row_mask:0xf bank_mask:0xf// 000000006AF8: 0A5838FA FF015C44
	v_mul_f32_dpp v45, v68, v29 row_newbcast:13 row_mask:0xf bank_mask:0xf// 000000006B00: 0A5A3AFA FF015D44
	v_mul_f32_dpp v46, v68, v30 row_newbcast:14 row_mask:0xf bank_mask:0xf// 000000006B08: 0A5C3CFA FF015E44
	v_mul_f32_dpp v47, v68, v31 row_newbcast:15 row_mask:0xf bank_mask:0xf// 000000006B10: 0A5E3EFA FF015F44
	v_mov_b32_e32 v92, 0x358637bd                              // 000000006B18: 7EB802FF 358637BD
	v_max3_f32 v92, |v32|, |v33|, v92                          // 000000006B20: D1D3035C 05724320
	v_max3_f32 v92, |v34|, |v35|, v92                          // 000000006B28: D1D3035C 05724722
	v_max3_f32 v92, |v36|, |v37|, v92                          // 000000006B30: D1D3035C 05724B24
	v_max3_f32 v92, |v38|, |v39|, v92                          // 000000006B38: D1D3035C 05724F26
	v_max3_f32 v92, |v40|, |v41|, v92                          // 000000006B40: D1D3035C 05725328
	v_max3_f32 v92, |v42|, |v43|, v92                          // 000000006B48: D1D3035C 0572572A
	v_max3_f32 v92, |v44|, |v45|, v92                          // 000000006B50: D1D3035C 05725B2C
	v_max3_f32 v92, |v46|, |v47|, v92                          // 000000006B58: D1D3035C 05725F2E
	ds_write_b32 v122, v92 offset:1280                         // 000000006B60: D81A0500 00005C7A
	v_sub_f32_e32 v94, v96, v97                                // 000000006B68: 04BCC360
	v_cmp_eq_u32_e64 s[84:85], v105, v96                       // 000000006B6C: D0CA0054 0002C169
	s_nop 0                                                    // 000000006B74: BF800000
	v_cndmask_b32_e64 v94, v94, 0, s[84:85]                    // 000000006B78: D100005E 0151015E
	v_mov_b32_e32 v96, v97                                     // 000000006B80: 7EC00361
	v_mul_f32_e32 v94, s51, v94                                // 000000006B84: 0ABCBC33
	v_exp_f32_e32 v94, v94                                     // 000000006B88: 7EBC415E
	s_nop 0                                                    // 000000006B8C: BF800000
	v_mov_b32_e32 v95, v94                                     // 000000006B90: 7EBE035E
	s_waitcnt lgkmcnt(0)                                       // 000000006B94: BF8CC07F
	s_barrier                                                  // 000000006B98: BF8A0000
	ds_read_b32 v76, v123 offset:1280                          // 000000006B9C: D86C0500 4C00007B
	ds_read_b32 v77, v123 offset:1344                          // 000000006BA4: D86C0540 4D00007B
	ds_read_b32 v78, v123 offset:1408                          // 000000006BAC: D86C0580 4E00007B
	ds_read_b32 v79, v123 offset:1472                          // 000000006BB4: D86C05C0 4F00007B
	ds_read_b32 v80, v123 offset:1536                          // 000000006BBC: D86C0600 5000007B
	ds_read_b32 v81, v123 offset:1600                          // 000000006BC4: D86C0640 5100007B
	ds_read_b32 v82, v123 offset:1664                          // 000000006BCC: D86C0680 5200007B
	ds_read_b32 v83, v123 offset:1728                          // 000000006BD4: D86C06C0 5300007B
	ds_read_b32 v84, v123 offset:1792                          // 000000006BDC: D86C0700 5400007B
	ds_read_b32 v85, v123 offset:1856                          // 000000006BE4: D86C0740 5500007B
	ds_read_b32 v86, v123 offset:1920                          // 000000006BEC: D86C0780 5600007B
	ds_read_b32 v87, v123 offset:1984                          // 000000006BF4: D86C07C0 5700007B
	ds_read_b32 v88, v123 offset:2048                          // 000000006BFC: D86C0800 5800007B
	ds_read_b32 v89, v123 offset:2112                          // 000000006C04: D86C0840 5900007B
	ds_read_b32 v90, v123 offset:2176                          // 000000006C0C: D86C0880 5A00007B
	ds_read_b32 v91, v123 offset:2240                          // 000000006C14: D86C08C0 5B00007B
	v_mul_f32_e32 v98, v94, v98                                // 000000006C1C: 0AC4C55E
	v_add_f32_e32 v98, v16, v98                                // 000000006C20: 02C4C510
	v_add_f32_e32 v98, v17, v98                                // 000000006C24: 02C4C511
	v_add_f32_e32 v98, v18, v98                                // 000000006C28: 02C4C512
	v_add_f32_e32 v98, v19, v98                                // 000000006C2C: 02C4C513
	v_add_f32_e32 v98, v20, v98                                // 000000006C30: 02C4C514
	v_add_f32_e32 v98, v21, v98                                // 000000006C34: 02C4C515
	v_add_f32_e32 v98, v22, v98                                // 000000006C38: 02C4C516
	v_add_f32_e32 v98, v23, v98                                // 000000006C3C: 02C4C517
	v_add_f32_e32 v98, v24, v98                                // 000000006C40: 02C4C518
	v_add_f32_e32 v98, v25, v98                                // 000000006C44: 02C4C519
	v_add_f32_e32 v98, v26, v98                                // 000000006C48: 02C4C51A
	v_add_f32_e32 v98, v27, v98                                // 000000006C4C: 02C4C51B
	v_add_f32_e32 v98, v28, v98                                // 000000006C50: 02C4C51C
	v_add_f32_e32 v98, v29, v98                                // 000000006C54: 02C4C51D
	v_add_f32_e32 v98, v30, v98                                // 000000006C58: 02C4C51E
	v_add_f32_e32 v98, v31, v98                                // 000000006C5C: 02C4C51F
	s_waitcnt lgkmcnt(0)                                       // 000000006C60: BF8CC07F
	v_max3_f32 v92, v76, v77, v92                              // 000000006C64: D1D3005C 05729B4C
	v_max3_f32 v92, v78, v79, v92                              // 000000006C6C: D1D3005C 05729F4E
	v_max3_f32 v92, v80, v81, v92                              // 000000006C74: D1D3005C 0572A350
	v_max3_f32 v92, v82, v83, v92                              // 000000006C7C: D1D3005C 0572A752
	v_max3_f32 v92, v84, v85, v92                              // 000000006C84: D1D3005C 0572AB54
	v_max3_f32 v92, v86, v87, v92                              // 000000006C8C: D1D3005C 0572AF56
	v_max3_f32 v92, v88, v89, v92                              // 000000006C94: D1D3005C 0572B358
	v_max3_f32 v92, v90, v91, v92                              // 000000006C9C: D1D3005C 0572B75A
	v_rcp_f32_e32 v92, v92                                     // 000000006CA4: 7EB8455C
	s_nop 0                                                    // 000000006CA8: BF800000
	v_mul_f32_e32 v92, 0x43700000, v92                         // 000000006CAC: 0AB8B8FF 43700000
	v_mov_b32_e32 v93, v92                                     // 000000006CB4: 7EBA035C
	v_pk_mul_f32 v[16:17], v[92:93], v[32:33]                  // 000000006CB8: D3B14010 1802415C
	v_pk_mul_f32 v[18:19], v[92:93], v[34:35]                  // 000000006CC0: D3B14012 1802455C
	v_pk_mul_f32 v[20:21], v[92:93], v[36:37]                  // 000000006CC8: D3B14014 1802495C
	v_pk_mul_f32 v[22:23], v[92:93], v[38:39]                  // 000000006CD0: D3B14016 18024D5C
	v_pk_mul_f32 v[24:25], v[92:93], v[40:41]                  // 000000006CD8: D3B14018 1802515C
	v_pk_mul_f32 v[26:27], v[92:93], v[42:43]                  // 000000006CE0: D3B1401A 1802555C
	v_pk_mul_f32 v[28:29], v[92:93], v[44:45]                  // 000000006CE8: D3B1401C 1802595C
	v_pk_mul_f32 v[30:31], v[92:93], v[46:47]                  // 000000006CF0: D3B1401E 18025D5C
	v_cvt_pk_fp8_f32 v16, v16, v17                             // 000000006CF8: D2A20010 00022310
	v_cvt_pk_fp8_f32 v16, v18, v19 op_sel:[0,0,1]              // 000000006D00: D2A24010 00022712
	v_cvt_pk_fp8_f32 v17, v20, v21                             // 000000006D08: D2A20011 00022B14
	v_cvt_pk_fp8_f32 v17, v22, v23 op_sel:[0,0,1]              // 000000006D10: D2A24011 00022F16
	v_cvt_pk_fp8_f32 v18, v24, v25                             // 000000006D18: D2A20012 00023318
	v_cvt_pk_fp8_f32 v18, v26, v27 op_sel:[0,0,1]              // 000000006D20: D2A24012 0002371A
	v_cvt_pk_fp8_f32 v19, v28, v29                             // 000000006D28: D2A20013 00023B1C
	v_cvt_pk_fp8_f32 v19, v30, v31 op_sel:[0,0,1]              // 000000006D30: D2A24013 00023F1E
	ds_write_b32 v124, v16 offset:2560                         // 000000006D38: D81A0A00 0000107C
	ds_write_b32 v124, v17 offset:3584                         // 000000006D40: D81A0E00 0000117C
	ds_write_b32 v124, v18 offset:4608                         // 000000006D48: D81A1200 0000127C
	ds_write_b32 v124, v19 offset:5632                         // 000000006D50: D81A1600 0000137C
	v_rcp_f32_e32 v70, v92                                     // 000000006D58: 7E8C455C
	s_nop 0                                                    // 000000006D5C: BF800000
	v_mov_b32_e32 v71, v70                                     // 000000006D60: 7E8E0346
	v_pk_add_f32 v[56:57], v[56:57], v[48:49]                  // 000000006D64: D3B24038 18026138
	v_pk_add_f32 v[58:59], v[58:59], v[50:51]                  // 000000006D6C: D3B2403A 1802653A
	v_pk_add_f32 v[60:61], v[60:61], v[52:53]                  // 000000006D74: D3B2403C 1802693C
	v_pk_add_f32 v[62:63], v[62:63], v[54:55]                  // 000000006D7C: D3B2403E 18026D3E
	s_waitcnt lgkmcnt(0)                                       // 000000006D84: BF8CC07F
	s_barrier                                                  // 000000006D88: BF8A0000
	ds_read_b128 v[16:19], v125 offset:2560                    // 000000006D8C: D9FE0A00 1000007D
	ds_read_b128 v[20:23], v125 offset:3584                    // 000000006D94: D9FE0E00 1400007D
	ds_read_b128 v[24:27], v125 offset:4608                    // 000000006D9C: D9FE1200 1800007D
	ds_read_b128 v[28:31], v125 offset:5632                    // 000000006DA4: D9FE1600 1C00007D
	s_waitcnt vmcnt(0)                                         // 000000006DAC: BF8C0F70
	s_waitcnt lgkmcnt(3)                                       // 000000006DB0: BF8CC37F
	v_mfma_f32_16x16x32_fp8_fp8 v[48:51], a[64:65], v[16:17], 0// 000000006DB4: D3F30030 0A022140
	v_mfma_f32_16x16x32_fp8_fp8 v[52:55], a[80:81], v[16:17], 0// 000000006DBC: D3F30034 0A022150
	v_mfma_f32_16x16x32_fp8_fp8 v[48:51], a[66:67], v[18:19], v[48:51]// 000000006DC4: D3F30030 0CC22542
	v_mfma_f32_16x16x32_fp8_fp8 v[52:55], a[82:83], v[18:19], v[52:55]// 000000006DCC: D3F30034 0CD22552
	s_waitcnt lgkmcnt(2)                                       // 000000006DD4: BF8CC27F
	v_mfma_f32_16x16x32_fp8_fp8 v[48:51], a[68:69], v[20:21], v[48:51]// 000000006DD8: D3F30030 0CC22944
	v_mfma_f32_16x16x32_fp8_fp8 v[52:55], a[84:85], v[20:21], v[52:55]// 000000006DE0: D3F30034 0CD22954
	v_mfma_f32_16x16x32_fp8_fp8 v[48:51], a[70:71], v[22:23], v[48:51]// 000000006DE8: D3F30030 0CC22D46
	v_mfma_f32_16x16x32_fp8_fp8 v[52:55], a[86:87], v[22:23], v[52:55]// 000000006DF0: D3F30034 0CD22D56
	s_waitcnt lgkmcnt(1)                                       // 000000006DF8: BF8CC17F
	v_mfma_f32_16x16x32_fp8_fp8 v[48:51], a[72:73], v[24:25], v[48:51]// 000000006DFC: D3F30030 0CC23148
	v_mfma_f32_16x16x32_fp8_fp8 v[52:55], a[88:89], v[24:25], v[52:55]// 000000006E04: D3F30034 0CD23158
	v_mfma_f32_16x16x32_fp8_fp8 v[48:51], a[74:75], v[26:27], v[48:51]// 000000006E0C: D3F30030 0CC2354A
	v_mfma_f32_16x16x32_fp8_fp8 v[52:55], a[90:91], v[26:27], v[52:55]// 000000006E14: D3F30034 0CD2355A
	s_waitcnt lgkmcnt(0)                                       // 000000006E1C: BF8CC07F
	v_mfma_f32_16x16x32_fp8_fp8 v[48:51], a[76:77], v[28:29], v[48:51]// 000000006E20: D3F30030 0CC2394C
	v_mfma_f32_16x16x32_fp8_fp8 v[52:55], a[92:93], v[28:29], v[52:55]// 000000006E28: D3F30034 0CD2395C
	v_mfma_f32_16x16x32_fp8_fp8 v[48:51], a[78:79], v[30:31], v[48:51]// 000000006E30: D3F30030 0CC23D4E
	v_mfma_f32_16x16x32_fp8_fp8 v[52:55], a[94:95], v[30:31], v[52:55]// 000000006E38: D3F30034 0CD23D5E
	s_branch label_1573                                        // 000000006E40: BF820222

0000000000006e44 <label_1351>:
	s_waitcnt vmcnt(10)                                        // 000000006E44: BF8C0F7A
	v_mfma_f32_16x16x32_fp8_fp8 v[16:19], a[32:33], v[8:9], 0  // 000000006E48: D3F30010 0A021120
	v_mfma_f32_16x16x32_fp8_fp8 v[16:19], a[34:35], v[10:11], v[16:19]// 000000006E50: D3F30010 0C421522
	v_mfma_f32_16x16x32_fp8_fp8 v[16:19], a[36:37], v[12:13], v[16:19]// 000000006E58: D3F30010 0C421924
	v_mfma_f32_16x16x32_fp8_fp8 v[16:19], a[38:39], v[14:15], v[16:19]// 000000006E60: D3F30010 0C421D26
	v_mfma_f32_16x16x32_fp8_fp8 v[20:23], a[40:41], v[8:9], 0  // 000000006E68: D3F30014 0A021128
	v_mfma_f32_16x16x32_fp8_fp8 v[20:23], a[42:43], v[10:11], v[20:23]// 000000006E70: D3F30014 0C52152A
	v_mfma_f32_16x16x32_fp8_fp8 v[20:23], a[44:45], v[12:13], v[20:23]// 000000006E78: D3F30014 0C52192C
	v_mfma_f32_16x16x32_fp8_fp8 v[20:23], a[46:47], v[14:15], v[20:23]// 000000006E80: D3F30014 0C521D2E
	v_mfma_f32_16x16x32_fp8_fp8 v[24:27], a[48:49], v[8:9], 0  // 000000006E88: D3F30018 0A021130
	v_mfma_f32_16x16x32_fp8_fp8 v[24:27], a[50:51], v[10:11], v[24:27]// 000000006E90: D3F30018 0C621532
	v_mfma_f32_16x16x32_fp8_fp8 v[24:27], a[52:53], v[12:13], v[24:27]// 000000006E98: D3F30018 0C621934
	v_mfma_f32_16x16x32_fp8_fp8 v[24:27], a[54:55], v[14:15], v[24:27]// 000000006EA0: D3F30018 0C621D36
	v_mfma_f32_16x16x32_fp8_fp8 v[28:31], a[56:57], v[8:9], 0  // 000000006EA8: D3F3001C 0A021138
	v_mfma_f32_16x16x32_fp8_fp8 v[28:31], a[58:59], v[10:11], v[28:31]// 000000006EB0: D3F3001C 0C72153A
	v_mfma_f32_16x16x32_fp8_fp8 v[28:31], a[60:61], v[12:13], v[28:31]// 000000006EB8: D3F3001C 0C72193C
	v_mfma_f32_16x16x32_fp8_fp8 v[28:31], a[62:63], v[14:15], v[28:31]// 000000006EC0: D3F3001C 0C721D3E
	s_waitcnt vmcnt(8)                                         // 000000006EC8: BF8C0F78
	v_pk_mul_f32 v[16:17], v[64:65], v[16:17]                  // 000000006ECC: D3B14010 18022140
	v_pk_mul_f32 v[18:19], v[64:65], v[18:19]                  // 000000006ED4: D3B14012 18022540
	v_mul_f32_dpp v16, v67, v16 row_newbcast:0 row_mask:0xf bank_mask:0xf// 000000006EDC: 0A2020FA FF015043
	v_mul_f32_dpp v17, v67, v17 row_newbcast:1 row_mask:0xf bank_mask:0xf// 000000006EE4: 0A2222FA FF015143
	v_mul_f32_dpp v18, v67, v18 row_newbcast:2 row_mask:0xf bank_mask:0xf// 000000006EEC: 0A2424FA FF015243
	v_mul_f32_dpp v19, v67, v19 row_newbcast:3 row_mask:0xf bank_mask:0xf// 000000006EF4: 0A2626FA FF015343
	v_pk_mul_f32 v[20:21], v[64:65], v[20:21]                  // 000000006EFC: D3B14014 18022940
	v_pk_mul_f32 v[22:23], v[64:65], v[22:23]                  // 000000006F04: D3B14016 18022D40
	v_mul_f32_dpp v20, v67, v20 row_newbcast:4 row_mask:0xf bank_mask:0xf// 000000006F0C: 0A2828FA FF015443
	v_mul_f32_dpp v21, v67, v21 row_newbcast:5 row_mask:0xf bank_mask:0xf// 000000006F14: 0A2A2AFA FF015543
	v_mul_f32_dpp v22, v67, v22 row_newbcast:6 row_mask:0xf bank_mask:0xf// 000000006F1C: 0A2C2CFA FF015643
	v_mul_f32_dpp v23, v67, v23 row_newbcast:7 row_mask:0xf bank_mask:0xf// 000000006F24: 0A2E2EFA FF015743
	v_pk_mul_f32 v[24:25], v[64:65], v[24:25]                  // 000000006F2C: D3B14018 18023140
	v_pk_mul_f32 v[26:27], v[64:65], v[26:27]                  // 000000006F34: D3B1401A 18023540
	v_mul_f32_dpp v24, v67, v24 row_newbcast:8 row_mask:0xf bank_mask:0xf// 000000006F3C: 0A3030FA FF015843
	v_mul_f32_dpp v25, v67, v25 row_newbcast:9 row_mask:0xf bank_mask:0xf// 000000006F44: 0A3232FA FF015943
	v_mul_f32_dpp v26, v67, v26 row_newbcast:10 row_mask:0xf bank_mask:0xf// 000000006F4C: 0A3434FA FF015A43
	v_mul_f32_dpp v27, v67, v27 row_newbcast:11 row_mask:0xf bank_mask:0xf// 000000006F54: 0A3636FA FF015B43
	v_pk_mul_f32 v[28:29], v[64:65], v[28:29]                  // 000000006F5C: D3B1401C 18023940
	v_pk_mul_f32 v[30:31], v[64:65], v[30:31]                  // 000000006F64: D3B1401E 18023D40
	v_mul_f32_dpp v28, v67, v28 row_newbcast:12 row_mask:0xf bank_mask:0xf// 000000006F6C: 0A3838FA FF015C43
	v_mul_f32_dpp v29, v67, v29 row_newbcast:13 row_mask:0xf bank_mask:0xf// 000000006F74: 0A3A3AFA FF015D43
	v_mul_f32_dpp v30, v67, v30 row_newbcast:14 row_mask:0xf bank_mask:0xf// 000000006F7C: 0A3C3CFA FF015E43
	v_mul_f32_dpp v31, v67, v31 row_newbcast:15 row_mask:0xf bank_mask:0xf// 000000006F84: 0A3E3EFA FF015F43
	v_add_u32_e32 v72, s49, v104                               // 000000006F8C: 6890D031
	v_add_u32_e32 v73, 0, v72                                  // 000000006F90: 68929080
	v_cmp_lt_u32_e64 s[84:85], v73, v103                       // 000000006F94: D0C90054 0002CF49
	s_nop 0                                                    // 000000006F9C: BF800000
	v_cndmask_b32_e64 v16, v105, v16, s[84:85]                 // 000000006FA0: D1000010 01522169
	v_add_u32_e32 v73, 1, v72                                  // 000000006FA8: 68929081
	v_cmp_lt_u32_e64 s[84:85], v73, v103                       // 000000006FAC: D0C90054 0002CF49
	s_nop 0                                                    // 000000006FB4: BF800000
	v_cndmask_b32_e64 v17, v105, v17, s[84:85]                 // 000000006FB8: D1000011 01522369
	v_add_u32_e32 v73, 2, v72                                  // 000000006FC0: 68929082
	v_cmp_lt_u32_e64 s[84:85], v73, v103                       // 000000006FC4: D0C90054 0002CF49
	s_nop 0                                                    // 000000006FCC: BF800000
	v_cndmask_b32_e64 v18, v105, v18, s[84:85]                 // 000000006FD0: D1000012 01522569
	v_add_u32_e32 v73, 3, v72                                  // 000000006FD8: 68929083
	v_cmp_lt_u32_e64 s[84:85], v73, v103                       // 000000006FDC: D0C90054 0002CF49
	s_nop 0                                                    // 000000006FE4: BF800000
	v_cndmask_b32_e64 v19, v105, v19, s[84:85]                 // 000000006FE8: D1000013 01522769
	v_add_u32_e32 v73, 64, v72                                 // 000000006FF0: 689290C0
	v_cmp_lt_u32_e64 s[84:85], v73, v103                       // 000000006FF4: D0C90054 0002CF49
	s_nop 0                                                    // 000000006FFC: BF800000
	v_cndmask_b32_e64 v20, v105, v20, s[84:85]                 // 000000007000: D1000014 01522969
	v_add_u32_e32 v73, 0x41, v72                               // 000000007008: 689290FF 00000041
	v_cmp_lt_u32_e64 s[84:85], v73, v103                       // 000000007010: D0C90054 0002CF49
	s_nop 0                                                    // 000000007018: BF800000
	v_cndmask_b32_e64 v21, v105, v21, s[84:85]                 // 00000000701C: D1000015 01522B69
	v_add_u32_e32 v73, 0x42, v72                               // 000000007024: 689290FF 00000042
	v_cmp_lt_u32_e64 s[84:85], v73, v103                       // 00000000702C: D0C90054 0002CF49
	s_nop 0                                                    // 000000007034: BF800000
	v_cndmask_b32_e64 v22, v105, v22, s[84:85]                 // 000000007038: D1000016 01522D69
	v_add_u32_e32 v73, 0x43, v72                               // 000000007040: 689290FF 00000043
	v_cmp_lt_u32_e64 s[84:85], v73, v103                       // 000000007048: D0C90054 0002CF49
	s_nop 0                                                    // 000000007050: BF800000
	v_cndmask_b32_e64 v23, v105, v23, s[84:85]                 // 000000007054: D1000017 01522F69
	v_add_u32_e32 v73, 0x80, v72                               // 00000000705C: 689290FF 00000080
	v_cmp_lt_u32_e64 s[84:85], v73, v103                       // 000000007064: D0C90054 0002CF49
	s_nop 0                                                    // 00000000706C: BF800000
	v_cndmask_b32_e64 v24, v105, v24, s[84:85]                 // 000000007070: D1000018 01523169
	v_add_u32_e32 v73, 0x81, v72                               // 000000007078: 689290FF 00000081
	v_cmp_lt_u32_e64 s[84:85], v73, v103                       // 000000007080: D0C90054 0002CF49
	s_nop 0                                                    // 000000007088: BF800000
	v_cndmask_b32_e64 v25, v105, v25, s[84:85]                 // 00000000708C: D1000019 01523369
	v_add_u32_e32 v73, 0x82, v72                               // 000000007094: 689290FF 00000082
	v_cmp_lt_u32_e64 s[84:85], v73, v103                       // 00000000709C: D0C90054 0002CF49
	s_nop 0                                                    // 0000000070A4: BF800000
	v_cndmask_b32_e64 v26, v105, v26, s[84:85]                 // 0000000070A8: D100001A 01523569
	v_add_u32_e32 v73, 0x83, v72                               // 0000000070B0: 689290FF 00000083
	v_cmp_lt_u32_e64 s[84:85], v73, v103                       // 0000000070B8: D0C90054 0002CF49
	s_nop 0                                                    // 0000000070C0: BF800000
	v_cndmask_b32_e64 v27, v105, v27, s[84:85]                 // 0000000070C4: D100001B 01523769
	v_add_u32_e32 v73, 0xc0, v72                               // 0000000070CC: 689290FF 000000C0
	v_cmp_lt_u32_e64 s[84:85], v73, v103                       // 0000000070D4: D0C90054 0002CF49
	s_nop 0                                                    // 0000000070DC: BF800000
	v_cndmask_b32_e64 v28, v105, v28, s[84:85]                 // 0000000070E0: D100001C 01523969
	v_add_u32_e32 v73, 0xc1, v72                               // 0000000070E8: 689290FF 000000C1
	v_cmp_lt_u32_e64 s[84:85], v73, v103                       // 0000000070F0: D0C90054 0002CF49
	s_nop 0                                                    // 0000000070F8: BF800000
	v_cndmask_b32_e64 v29, v105, v29, s[84:85]                 // 0000000070FC: D100001D 01523B69
	v_add_u32_e32 v73, 0xc2, v72                               // 000000007104: 689290FF 000000C2
	v_cmp_lt_u32_e64 s[84:85], v73, v103                       // 00000000710C: D0C90054 0002CF49
	s_nop 0                                                    // 000000007114: BF800000
	v_cndmask_b32_e64 v30, v105, v30, s[84:85]                 // 000000007118: D100001E 01523D69
	v_add_u32_e32 v73, 0xc3, v72                               // 000000007120: 689290FF 000000C3
	v_cmp_lt_u32_e64 s[84:85], v73, v103                       // 000000007128: D0C90054 0002CF49
	s_nop 0                                                    // 000000007130: BF800000
	v_cndmask_b32_e64 v31, v105, v31, s[84:85]                 // 000000007134: D100001F 01523F69
	v_mov_b32_e32 v92, v16                                     // 00000000713C: 7EB80310
	v_max3_f32 v92, v16, v17, v92                              // 000000007140: D1D3005C 05722310
	v_max3_f32 v92, v18, v19, v92                              // 000000007148: D1D3005C 05722712
	v_max3_f32 v92, v20, v21, v92                              // 000000007150: D1D3005C 05722B14
	v_max3_f32 v92, v22, v23, v92                              // 000000007158: D1D3005C 05722F16
	v_max3_f32 v92, v24, v25, v92                              // 000000007160: D1D3005C 05723318
	v_max3_f32 v92, v26, v27, v92                              // 000000007168: D1D3005C 0572371A
	v_max3_f32 v92, v28, v29, v92                              // 000000007170: D1D3005C 05723B1C
	v_max3_f32 v92, v30, v31, v92                              // 000000007178: D1D3005C 05723F1E
	ds_write_b32 v122, v92                                     // 000000007180: D81A0000 00005C7A
	v_pk_mul_f32 v[56:57], v[94:95], v[56:57]                  // 000000007188: D3B14038 1802715E
	v_pk_mul_f32 v[58:59], v[94:95], v[58:59]                  // 000000007190: D3B1403A 1802755E
	v_pk_mul_f32 v[60:61], v[94:95], v[60:61]                  // 000000007198: D3B1403C 1802795E
	v_pk_mul_f32 v[62:63], v[94:95], v[62:63]                  // 0000000071A0: D3B1403E 18027D5E
	s_waitcnt lgkmcnt(0)                                       // 0000000071A8: BF8CC07F
	s_barrier                                                  // 0000000071AC: BF8A0000
	ds_read_b32 v76, v123                                      // 0000000071B0: D86C0000 4C00007B
	ds_read_b32 v77, v123 offset:64                            // 0000000071B8: D86C0040 4D00007B
	ds_read_b32 v78, v123 offset:128                           // 0000000071C0: D86C0080 4E00007B
	ds_read_b32 v79, v123 offset:192                           // 0000000071C8: D86C00C0 4F00007B
	ds_read_b32 v80, v123 offset:256                           // 0000000071D0: D86C0100 5000007B
	ds_read_b32 v81, v123 offset:320                           // 0000000071D8: D86C0140 5100007B
	ds_read_b32 v82, v123 offset:384                           // 0000000071E0: D86C0180 5200007B
	ds_read_b32 v83, v123 offset:448                           // 0000000071E8: D86C01C0 5300007B
	ds_read_b32 v84, v123 offset:512                           // 0000000071F0: D86C0200 5400007B
	ds_read_b32 v85, v123 offset:576                           // 0000000071F8: D86C0240 5500007B
	ds_read_b32 v86, v123 offset:640                           // 000000007200: D86C0280 5600007B
	ds_read_b32 v87, v123 offset:704                           // 000000007208: D86C02C0 5700007B
	ds_read_b32 v88, v123 offset:768                           // 000000007210: D86C0300 5800007B
	ds_read_b32 v89, v123 offset:832                           // 000000007218: D86C0340 5900007B
	ds_read_b32 v90, v123 offset:896                           // 000000007220: D86C0380 5A00007B
	ds_read_b32 v91, v123 offset:960                           // 000000007228: D86C03C0 5B00007B
	v_pk_mul_f32 v[48:49], v[70:71], v[48:49]                  // 000000007230: D3B14030 18026146
	v_pk_mul_f32 v[50:51], v[70:71], v[50:51]                  // 000000007238: D3B14032 18026546
	v_pk_mul_f32 v[52:53], v[70:71], v[52:53]                  // 000000007240: D3B14034 18026946
	v_pk_mul_f32 v[54:55], v[70:71], v[54:55]                  // 000000007248: D3B14036 18026D46
	s_waitcnt lgkmcnt(0)                                       // 000000007250: BF8CC07F
	v_max3_f32 v92, v76, v77, v92                              // 000000007254: D1D3005C 05729B4C
	v_max3_f32 v92, v78, v79, v92                              // 00000000725C: D1D3005C 05729F4E
	v_max3_f32 v92, v80, v81, v92                              // 000000007264: D1D3005C 0572A350
	v_max3_f32 v92, v82, v83, v92                              // 00000000726C: D1D3005C 0572A752
	v_max3_f32 v92, v84, v85, v92                              // 000000007274: D1D3005C 0572AB54
	v_max3_f32 v92, v86, v87, v92                              // 00000000727C: D1D3005C 0572AF56
	v_max3_f32 v92, v88, v89, v92                              // 000000007284: D1D3005C 0572B358
	v_max3_f32 v92, v90, v91, v92                              // 00000000728C: D1D3005C 0572B75A
	v_max_f32_e32 v97, v92, v96                                // 000000007294: 16C2C15C
	v_mul_f32_e64 v72, -s51, v97                               // 000000007298: D1050048 2002C233
	v_mov_b32_e32 v73, v72                                     // 0000000072A0: 7E920348
	v_pk_fma_f32 v[16:17], v[16:17], s[86:87], v[72:73]        // 0000000072A4: D3B04010 1D20AD10
	v_pk_fma_f32 v[18:19], v[18:19], s[86:87], v[72:73]        // 0000000072AC: D3B04012 1D20AD12
	v_exp_f32_e32 v16, v16                                     // 0000000072B4: 7E204110
	v_exp_f32_e32 v17, v17                                     // 0000000072B8: 7E224111
	v_exp_f32_e32 v18, v18                                     // 0000000072BC: 7E244112
	v_exp_f32_e32 v19, v19                                     // 0000000072C0: 7E264113
	v_pk_fma_f32 v[20:21], v[20:21], s[86:87], v[72:73]        // 0000000072C4: D3B04014 1D20AD14
	v_pk_fma_f32 v[22:23], v[22:23], s[86:87], v[72:73]        // 0000000072CC: D3B04016 1D20AD16
	v_exp_f32_e32 v20, v20                                     // 0000000072D4: 7E284114
	v_exp_f32_e32 v21, v21                                     // 0000000072D8: 7E2A4115
	v_exp_f32_e32 v22, v22                                     // 0000000072DC: 7E2C4116
	v_exp_f32_e32 v23, v23                                     // 0000000072E0: 7E2E4117
	v_pk_fma_f32 v[24:25], v[24:25], s[86:87], v[72:73]        // 0000000072E4: D3B04018 1D20AD18
	v_pk_fma_f32 v[26:27], v[26:27], s[86:87], v[72:73]        // 0000000072EC: D3B0401A 1D20AD1A
	v_exp_f32_e32 v24, v24                                     // 0000000072F4: 7E304118
	v_exp_f32_e32 v25, v25                                     // 0000000072F8: 7E324119
	v_exp_f32_e32 v26, v26                                     // 0000000072FC: 7E34411A
	v_exp_f32_e32 v27, v27                                     // 000000007300: 7E36411B
	v_pk_fma_f32 v[28:29], v[28:29], s[86:87], v[72:73]        // 000000007304: D3B0401C 1D20AD1C
	v_pk_fma_f32 v[30:31], v[30:31], s[86:87], v[72:73]        // 00000000730C: D3B0401E 1D20AD1E
	v_exp_f32_e32 v28, v28                                     // 000000007314: 7E38411C
	v_exp_f32_e32 v29, v29                                     // 000000007318: 7E3A411D
	v_exp_f32_e32 v30, v30                                     // 00000000731C: 7E3C411E
	v_exp_f32_e32 v31, v31                                     // 000000007320: 7E3E411F
	v_mul_f32_dpp v32, v69, v16 row_newbcast:0 row_mask:0xf bank_mask:0xf// 000000007324: 0A4020FA FF015045
	v_mul_f32_dpp v33, v69, v17 row_newbcast:1 row_mask:0xf bank_mask:0xf// 00000000732C: 0A4222FA FF015145
	v_mul_f32_dpp v34, v69, v18 row_newbcast:2 row_mask:0xf bank_mask:0xf// 000000007334: 0A4424FA FF015245
	v_mul_f32_dpp v35, v69, v19 row_newbcast:3 row_mask:0xf bank_mask:0xf// 00000000733C: 0A4626FA FF015345
	v_mul_f32_dpp v36, v69, v20 row_newbcast:4 row_mask:0xf bank_mask:0xf// 000000007344: 0A4828FA FF015445
	v_mul_f32_dpp v37, v69, v21 row_newbcast:5 row_mask:0xf bank_mask:0xf// 00000000734C: 0A4A2AFA FF015545
	v_mul_f32_dpp v38, v69, v22 row_newbcast:6 row_mask:0xf bank_mask:0xf// 000000007354: 0A4C2CFA FF015645
	v_mul_f32_dpp v39, v69, v23 row_newbcast:7 row_mask:0xf bank_mask:0xf// 00000000735C: 0A4E2EFA FF015745
	v_mul_f32_dpp v40, v69, v24 row_newbcast:8 row_mask:0xf bank_mask:0xf// 000000007364: 0A5030FA FF015845
	v_mul_f32_dpp v41, v69, v25 row_newbcast:9 row_mask:0xf bank_mask:0xf// 00000000736C: 0A5232FA FF015945
	v_mul_f32_dpp v42, v69, v26 row_newbcast:10 row_mask:0xf bank_mask:0xf// 000000007374: 0A5434FA FF015A45
	v_mul_f32_dpp v43, v69, v27 row_newbcast:11 row_mask:0xf bank_mask:0xf// 00000000737C: 0A5636FA FF015B45
	v_mul_f32_dpp v44, v69, v28 row_newbcast:12 row_mask:0xf bank_mask:0xf// 000000007384: 0A5838FA FF015C45
	v_mul_f32_dpp v45, v69, v29 row_newbcast:13 row_mask:0xf bank_mask:0xf// 00000000738C: 0A5A3AFA FF015D45
	v_mul_f32_dpp v46, v69, v30 row_newbcast:14 row_mask:0xf bank_mask:0xf// 000000007394: 0A5C3CFA FF015E45
	v_mul_f32_dpp v47, v69, v31 row_newbcast:15 row_mask:0xf bank_mask:0xf// 00000000739C: 0A5E3EFA FF015F45
	v_mov_b32_e32 v92, 0x358637bd                              // 0000000073A4: 7EB802FF 358637BD
	v_max3_f32 v92, |v32|, |v33|, v92                          // 0000000073AC: D1D3035C 05724320
	v_max3_f32 v92, |v34|, |v35|, v92                          // 0000000073B4: D1D3035C 05724722
	v_max3_f32 v92, |v36|, |v37|, v92                          // 0000000073BC: D1D3035C 05724B24
	v_max3_f32 v92, |v38|, |v39|, v92                          // 0000000073C4: D1D3035C 05724F26
	v_max3_f32 v92, |v40|, |v41|, v92                          // 0000000073CC: D1D3035C 05725328
	v_max3_f32 v92, |v42|, |v43|, v92                          // 0000000073D4: D1D3035C 0572572A
	v_max3_f32 v92, |v44|, |v45|, v92                          // 0000000073DC: D1D3035C 05725B2C
	v_max3_f32 v92, |v46|, |v47|, v92                          // 0000000073E4: D1D3035C 05725F2E
	ds_write_b32 v122, v92 offset:1280                         // 0000000073EC: D81A0500 00005C7A
	v_sub_f32_e32 v94, v96, v97                                // 0000000073F4: 04BCC360
	v_cmp_eq_u32_e64 s[84:85], v105, v96                       // 0000000073F8: D0CA0054 0002C169
	s_nop 0                                                    // 000000007400: BF800000
	v_cndmask_b32_e64 v94, v94, 0, s[84:85]                    // 000000007404: D100005E 0151015E
	v_mov_b32_e32 v96, v97                                     // 00000000740C: 7EC00361
	v_mul_f32_e32 v94, s51, v94                                // 000000007410: 0ABCBC33
	v_exp_f32_e32 v94, v94                                     // 000000007414: 7EBC415E
	s_nop 0                                                    // 000000007418: BF800000
	v_mov_b32_e32 v95, v94                                     // 00000000741C: 7EBE035E
	s_waitcnt lgkmcnt(0)                                       // 000000007420: BF8CC07F
	s_barrier                                                  // 000000007424: BF8A0000
	ds_read_b32 v76, v123 offset:1280                          // 000000007428: D86C0500 4C00007B
	ds_read_b32 v77, v123 offset:1344                          // 000000007430: D86C0540 4D00007B
	ds_read_b32 v78, v123 offset:1408                          // 000000007438: D86C0580 4E00007B
	ds_read_b32 v79, v123 offset:1472                          // 000000007440: D86C05C0 4F00007B
	ds_read_b32 v80, v123 offset:1536                          // 000000007448: D86C0600 5000007B
	ds_read_b32 v81, v123 offset:1600                          // 000000007450: D86C0640 5100007B
	ds_read_b32 v82, v123 offset:1664                          // 000000007458: D86C0680 5200007B
	ds_read_b32 v83, v123 offset:1728                          // 000000007460: D86C06C0 5300007B
	ds_read_b32 v84, v123 offset:1792                          // 000000007468: D86C0700 5400007B
	ds_read_b32 v85, v123 offset:1856                          // 000000007470: D86C0740 5500007B
	ds_read_b32 v86, v123 offset:1920                          // 000000007478: D86C0780 5600007B
	ds_read_b32 v87, v123 offset:1984                          // 000000007480: D86C07C0 5700007B
	ds_read_b32 v88, v123 offset:2048                          // 000000007488: D86C0800 5800007B
	ds_read_b32 v89, v123 offset:2112                          // 000000007490: D86C0840 5900007B
	ds_read_b32 v90, v123 offset:2176                          // 000000007498: D86C0880 5A00007B
	ds_read_b32 v91, v123 offset:2240                          // 0000000074A0: D86C08C0 5B00007B
	v_mul_f32_e32 v98, v94, v98                                // 0000000074A8: 0AC4C55E
	v_add_f32_e32 v98, v16, v98                                // 0000000074AC: 02C4C510
	v_add_f32_e32 v98, v17, v98                                // 0000000074B0: 02C4C511
	v_add_f32_e32 v98, v18, v98                                // 0000000074B4: 02C4C512
	v_add_f32_e32 v98, v19, v98                                // 0000000074B8: 02C4C513
	v_add_f32_e32 v98, v20, v98                                // 0000000074BC: 02C4C514
	v_add_f32_e32 v98, v21, v98                                // 0000000074C0: 02C4C515
	v_add_f32_e32 v98, v22, v98                                // 0000000074C4: 02C4C516
	v_add_f32_e32 v98, v23, v98                                // 0000000074C8: 02C4C517
	v_add_f32_e32 v98, v24, v98                                // 0000000074CC: 02C4C518
	v_add_f32_e32 v98, v25, v98                                // 0000000074D0: 02C4C519
	v_add_f32_e32 v98, v26, v98                                // 0000000074D4: 02C4C51A
	v_add_f32_e32 v98, v27, v98                                // 0000000074D8: 02C4C51B
	v_add_f32_e32 v98, v28, v98                                // 0000000074DC: 02C4C51C
	v_add_f32_e32 v98, v29, v98                                // 0000000074E0: 02C4C51D
	v_add_f32_e32 v98, v30, v98                                // 0000000074E4: 02C4C51E
	v_add_f32_e32 v98, v31, v98                                // 0000000074E8: 02C4C51F
	s_waitcnt lgkmcnt(0)                                       // 0000000074EC: BF8CC07F
	v_max3_f32 v92, v76, v77, v92                              // 0000000074F0: D1D3005C 05729B4C
	v_max3_f32 v92, v78, v79, v92                              // 0000000074F8: D1D3005C 05729F4E
	v_max3_f32 v92, v80, v81, v92                              // 000000007500: D1D3005C 0572A350
	v_max3_f32 v92, v82, v83, v92                              // 000000007508: D1D3005C 0572A752
	v_max3_f32 v92, v84, v85, v92                              // 000000007510: D1D3005C 0572AB54
	v_max3_f32 v92, v86, v87, v92                              // 000000007518: D1D3005C 0572AF56
	v_max3_f32 v92, v88, v89, v92                              // 000000007520: D1D3005C 0572B358
	v_max3_f32 v92, v90, v91, v92                              // 000000007528: D1D3005C 0572B75A
	v_rcp_f32_e32 v92, v92                                     // 000000007530: 7EB8455C
	s_nop 0                                                    // 000000007534: BF800000
	v_mul_f32_e32 v92, 0x43700000, v92                         // 000000007538: 0AB8B8FF 43700000
	v_mov_b32_e32 v93, v92                                     // 000000007540: 7EBA035C
	v_pk_mul_f32 v[16:17], v[92:93], v[32:33]                  // 000000007544: D3B14010 1802415C
	v_pk_mul_f32 v[18:19], v[92:93], v[34:35]                  // 00000000754C: D3B14012 1802455C
	v_pk_mul_f32 v[20:21], v[92:93], v[36:37]                  // 000000007554: D3B14014 1802495C
	v_pk_mul_f32 v[22:23], v[92:93], v[38:39]                  // 00000000755C: D3B14016 18024D5C
	v_pk_mul_f32 v[24:25], v[92:93], v[40:41]                  // 000000007564: D3B14018 1802515C
	v_pk_mul_f32 v[26:27], v[92:93], v[42:43]                  // 00000000756C: D3B1401A 1802555C
	v_pk_mul_f32 v[28:29], v[92:93], v[44:45]                  // 000000007574: D3B1401C 1802595C
	v_pk_mul_f32 v[30:31], v[92:93], v[46:47]                  // 00000000757C: D3B1401E 18025D5C
	v_cvt_pk_fp8_f32 v16, v16, v17                             // 000000007584: D2A20010 00022310
	v_cvt_pk_fp8_f32 v16, v18, v19 op_sel:[0,0,1]              // 00000000758C: D2A24010 00022712
	v_cvt_pk_fp8_f32 v17, v20, v21                             // 000000007594: D2A20011 00022B14
	v_cvt_pk_fp8_f32 v17, v22, v23 op_sel:[0,0,1]              // 00000000759C: D2A24011 00022F16
	v_cvt_pk_fp8_f32 v18, v24, v25                             // 0000000075A4: D2A20012 00023318
	v_cvt_pk_fp8_f32 v18, v26, v27 op_sel:[0,0,1]              // 0000000075AC: D2A24012 0002371A
	v_cvt_pk_fp8_f32 v19, v28, v29                             // 0000000075B4: D2A20013 00023B1C
	v_cvt_pk_fp8_f32 v19, v30, v31 op_sel:[0,0,1]              // 0000000075BC: D2A24013 00023F1E
	ds_write_b32 v124, v16 offset:2560                         // 0000000075C4: D81A0A00 0000107C
	ds_write_b32 v124, v17 offset:3584                         // 0000000075CC: D81A0E00 0000117C
	ds_write_b32 v124, v18 offset:4608                         // 0000000075D4: D81A1200 0000127C
	ds_write_b32 v124, v19 offset:5632                         // 0000000075DC: D81A1600 0000137C
	v_rcp_f32_e32 v70, v92                                     // 0000000075E4: 7E8C455C
	s_nop 0                                                    // 0000000075E8: BF800000
	v_mov_b32_e32 v71, v70                                     // 0000000075EC: 7E8E0346
	v_pk_add_f32 v[56:57], v[56:57], v[48:49]                  // 0000000075F0: D3B24038 18026138
	v_pk_add_f32 v[58:59], v[58:59], v[50:51]                  // 0000000075F8: D3B2403A 1802653A
	v_pk_add_f32 v[60:61], v[60:61], v[52:53]                  // 000000007600: D3B2403C 1802693C
	v_pk_add_f32 v[62:63], v[62:63], v[54:55]                  // 000000007608: D3B2403E 18026D3E
	s_waitcnt lgkmcnt(0)                                       // 000000007610: BF8CC07F
	s_barrier                                                  // 000000007614: BF8A0000
	ds_read_b128 v[16:19], v125 offset:2560                    // 000000007618: D9FE0A00 1000007D
	ds_read_b128 v[20:23], v125 offset:3584                    // 000000007620: D9FE0E00 1400007D
	ds_read_b128 v[24:27], v125 offset:4608                    // 000000007628: D9FE1200 1800007D
	ds_read_b128 v[28:31], v125 offset:5632                    // 000000007630: D9FE1600 1C00007D
	s_waitcnt vmcnt(0)                                         // 000000007638: BF8C0F70
	s_waitcnt lgkmcnt(3)                                       // 00000000763C: BF8CC37F
	v_mfma_f32_16x16x32_fp8_fp8 v[48:51], a[96:97], v[16:17], 0// 000000007640: D3F30030 0A022160
	v_mfma_f32_16x16x32_fp8_fp8 v[52:55], a[112:113], v[16:17], 0// 000000007648: D3F30034 0A022170
	v_mfma_f32_16x16x32_fp8_fp8 v[48:51], a[98:99], v[18:19], v[48:51]// 000000007650: D3F30030 0CC22562
	v_mfma_f32_16x16x32_fp8_fp8 v[52:55], a[114:115], v[18:19], v[52:55]// 000000007658: D3F30034 0CD22572
	s_waitcnt lgkmcnt(2)                                       // 000000007660: BF8CC27F
	v_mfma_f32_16x16x32_fp8_fp8 v[48:51], a[100:101], v[20:21], v[48:51]// 000000007664: D3F30030 0CC22964
	v_mfma_f32_16x16x32_fp8_fp8 v[52:55], a[116:117], v[20:21], v[52:55]// 00000000766C: D3F30034 0CD22974
	v_mfma_f32_16x16x32_fp8_fp8 v[48:51], a[102:103], v[22:23], v[48:51]// 000000007674: D3F30030 0CC22D66
	v_mfma_f32_16x16x32_fp8_fp8 v[52:55], a[118:119], v[22:23], v[52:55]// 00000000767C: D3F30034 0CD22D76
	s_waitcnt lgkmcnt(1)                                       // 000000007684: BF8CC17F
	v_mfma_f32_16x16x32_fp8_fp8 v[48:51], a[104:105], v[24:25], v[48:51]// 000000007688: D3F30030 0CC23168
	v_mfma_f32_16x16x32_fp8_fp8 v[52:55], a[120:121], v[24:25], v[52:55]// 000000007690: D3F30034 0CD23178
	v_mfma_f32_16x16x32_fp8_fp8 v[48:51], a[106:107], v[26:27], v[48:51]// 000000007698: D3F30030 0CC2356A
	v_mfma_f32_16x16x32_fp8_fp8 v[52:55], a[122:123], v[26:27], v[52:55]// 0000000076A0: D3F30034 0CD2357A
	s_waitcnt lgkmcnt(0)                                       // 0000000076A8: BF8CC07F
	v_mfma_f32_16x16x32_fp8_fp8 v[48:51], a[108:109], v[28:29], v[48:51]// 0000000076AC: D3F30030 0CC2396C
	v_mfma_f32_16x16x32_fp8_fp8 v[52:55], a[124:125], v[28:29], v[52:55]// 0000000076B4: D3F30034 0CD2397C
	v_mfma_f32_16x16x32_fp8_fp8 v[48:51], a[110:111], v[30:31], v[48:51]// 0000000076BC: D3F30030 0CC23D6E
	v_mfma_f32_16x16x32_fp8_fp8 v[52:55], a[126:127], v[30:31], v[52:55]// 0000000076C4: D3F30034 0CD23D7E

00000000000076cc <label_1573>:
	ds_write_b32 v122, v98                                     // 0000000076CC: D81A0000 0000627A
	v_pk_mul_f32 v[56:57], v[94:95], v[56:57]                  // 0000000076D4: D3B14038 1802715E
	v_pk_mul_f32 v[58:59], v[94:95], v[58:59]                  // 0000000076DC: D3B1403A 1802755E
	v_pk_mul_f32 v[60:61], v[94:95], v[60:61]                  // 0000000076E4: D3B1403C 1802795E
	v_pk_mul_f32 v[62:63], v[94:95], v[62:63]                  // 0000000076EC: D3B1403E 18027D5E
	s_waitcnt lgkmcnt(0)                                       // 0000000076F4: BF8CC07F
	s_barrier                                                  // 0000000076F8: BF8A0000
	ds_read_b32 v76, v123                                      // 0000000076FC: D86C0000 4C00007B
	ds_read_b32 v77, v123 offset:64                            // 000000007704: D86C0040 4D00007B
	ds_read_b32 v78, v123 offset:128                           // 00000000770C: D86C0080 4E00007B
	ds_read_b32 v79, v123 offset:192                           // 000000007714: D86C00C0 4F00007B
	ds_read_b32 v80, v123 offset:256                           // 00000000771C: D86C0100 5000007B
	ds_read_b32 v81, v123 offset:320                           // 000000007724: D86C0140 5100007B
	ds_read_b32 v82, v123 offset:384                           // 00000000772C: D86C0180 5200007B
	ds_read_b32 v83, v123 offset:448                           // 000000007734: D86C01C0 5300007B
	ds_read_b32 v84, v123 offset:512                           // 00000000773C: D86C0200 5400007B
	ds_read_b32 v85, v123 offset:576                           // 000000007744: D86C0240 5500007B
	ds_read_b32 v86, v123 offset:640                           // 00000000774C: D86C0280 5600007B
	ds_read_b32 v87, v123 offset:704                           // 000000007754: D86C02C0 5700007B
	ds_read_b32 v88, v123 offset:768                           // 00000000775C: D86C0300 5800007B
	ds_read_b32 v89, v123 offset:832                           // 000000007764: D86C0340 5900007B
	ds_read_b32 v90, v123 offset:896                           // 00000000776C: D86C0380 5A00007B
	ds_read_b32 v91, v123 offset:960                           // 000000007774: D86C03C0 5B00007B
	v_pk_mul_f32 v[48:49], v[70:71], v[48:49]                  // 00000000777C: D3B14030 18026146
	v_pk_mul_f32 v[50:51], v[70:71], v[50:51]                  // 000000007784: D3B14032 18026546
	v_pk_mul_f32 v[52:53], v[70:71], v[52:53]                  // 00000000778C: D3B14034 18026946
	v_pk_mul_f32 v[54:55], v[70:71], v[54:55]                  // 000000007794: D3B14036 18026D46
	v_pk_add_f32 v[56:57], v[56:57], v[48:49]                  // 00000000779C: D3B24038 18026138
	v_pk_add_f32 v[58:59], v[58:59], v[50:51]                  // 0000000077A4: D3B2403A 1802653A
	v_pk_add_f32 v[60:61], v[60:61], v[52:53]                  // 0000000077AC: D3B2403C 1802693C
	v_pk_add_f32 v[62:63], v[62:63], v[54:55]                  // 0000000077B4: D3B2403E 18026D3E
	s_waitcnt lgkmcnt(0)                                       // 0000000077BC: BF8CC07F
	v_mov_b64_e32 v[92:93], 0                                  // 0000000077C0: 7EB87080
	v_pk_add_f32 v[92:93], v[76:77], v[92:93]                  // 0000000077C4: D3B2405C 1802B94C
	v_pk_add_f32 v[92:93], v[78:79], v[92:93]                  // 0000000077CC: D3B2405C 1802B94E
	v_pk_add_f32 v[92:93], v[80:81], v[92:93]                  // 0000000077D4: D3B2405C 1802B950
	v_pk_add_f32 v[92:93], v[82:83], v[92:93]                  // 0000000077DC: D3B2405C 1802B952
	v_pk_add_f32 v[92:93], v[84:85], v[92:93]                  // 0000000077E4: D3B2405C 1802B954
	v_pk_add_f32 v[92:93], v[86:87], v[92:93]                  // 0000000077EC: D3B2405C 1802B956
	v_pk_add_f32 v[92:93], v[88:89], v[92:93]                  // 0000000077F4: D3B2405C 1802B958
	v_pk_add_f32 v[92:93], v[90:91], v[92:93]                  // 0000000077FC: D3B2405C 1802B95A
	v_add_f32_e32 v98, v92, v93                                // 000000007804: 02C4BB5C
	v_rcp_f32_e32 v92, v98                                     // 000000007808: 7EB84562
	s_nop 0                                                    // 00000000780C: BF800000
	v_mov_b32_e32 v93, v92                                     // 000000007810: 7EBA035C
	v_pk_mul_f32 v[56:57], v[92:93], v[56:57]                  // 000000007814: D3B14038 1802715C
	v_pk_mul_f32 v[58:59], v[92:93], v[58:59]                  // 00000000781C: D3B1403A 1802755C
	v_pk_mul_f32 v[60:61], v[92:93], v[60:61]                  // 000000007824: D3B1403C 1802795C
	v_pk_mul_f32 v[62:63], v[92:93], v[62:63]                  // 00000000782C: D3B1403E 18027D5C
	v_cmp_u_f32_e64 s[84:85], v56, v56                         // 000000007834: D0480054 00027138
	v_add3_u32 v99, v56, v102, 1                               // 00000000783C: D1FF0063 0206CD38
	v_cndmask_b32_e64 v72, v99, v101, s[84:85]                 // 000000007844: D1000048 0152CB63
	v_cmp_u_f32_e64 s[84:85], v57, v57                         // 00000000784C: D0480054 00027339
	v_add3_u32 v99, v57, v102, 1                               // 000000007854: D1FF0063 0206CD39
	v_cndmask_b32_e64 v73, v99, v101, s[84:85]                 // 00000000785C: D1000049 0152CB63
	v_perm_b32 v56, v73, v72, s42                              // 000000007864: D1ED0038 00AA9149
	v_cmp_u_f32_e64 s[84:85], v58, v58                         // 00000000786C: D0480054 0002753A
	v_add3_u32 v99, v58, v102, 1                               // 000000007874: D1FF0063 0206CD3A
	v_cndmask_b32_e64 v72, v99, v101, s[84:85]                 // 00000000787C: D1000048 0152CB63
	v_cmp_u_f32_e64 s[84:85], v59, v59                         // 000000007884: D0480054 0002773B
	v_add3_u32 v99, v59, v102, 1                               // 00000000788C: D1FF0063 0206CD3B
	v_cndmask_b32_e64 v73, v99, v101, s[84:85]                 // 000000007894: D1000049 0152CB63
	v_perm_b32 v57, v73, v72, s42                              // 00000000789C: D1ED0039 00AA9149
	v_cmp_u_f32_e64 s[84:85], v60, v60                         // 0000000078A4: D0480054 0002793C
	v_add3_u32 v99, v60, v102, 1                               // 0000000078AC: D1FF0063 0206CD3C
	v_cndmask_b32_e64 v72, v99, v101, s[84:85]                 // 0000000078B4: D1000048 0152CB63
	v_cmp_u_f32_e64 s[84:85], v61, v61                         // 0000000078BC: D0480054 00027B3D
	v_add3_u32 v99, v61, v102, 1                               // 0000000078C4: D1FF0063 0206CD3D
	v_cndmask_b32_e64 v73, v99, v101, s[84:85]                 // 0000000078CC: D1000049 0152CB63
	v_perm_b32 v58, v73, v72, s42                              // 0000000078D4: D1ED003A 00AA9149
	v_cmp_u_f32_e64 s[84:85], v62, v62                         // 0000000078DC: D0480054 00027D3E
	v_add3_u32 v99, v62, v102, 1                               // 0000000078E4: D1FF0063 0206CD3E
	v_cndmask_b32_e64 v72, v99, v101, s[84:85]                 // 0000000078EC: D1000048 0152CB63
	v_cmp_u_f32_e64 s[84:85], v63, v63                         // 0000000078F4: D0480054 00027F3F
	v_add3_u32 v99, v63, v102, 1                               // 0000000078FC: D1FF0063 0206CD3F
	v_cndmask_b32_e64 v73, v99, v101, s[84:85]                 // 000000007904: D1000049 0152CB63
	v_perm_b32 v59, v73, v72, s42                              // 00000000790C: D1ED003B 00AA9149
	ds_write_b64 v120, v[56:57] offset:2560                    // 000000007914: D89A0A00 00003878
	ds_write_b64 v120, v[58:59] offset:4864                    // 00000000791C: D89A1300 00003A78
	s_waitcnt lgkmcnt(0)                                       // 000000007924: BF8CC07F
	s_barrier                                                  // 000000007928: BF8A0000
	ds_read_b128 v[56:59], v121 offset:2560                    // 00000000792C: D9FE0A00 38000079
	s_waitcnt lgkmcnt(0)                                       // 000000007934: BF8CC07F
	buffer_store_dwordx4 v[56:59], v107, s[4:7], 0 offen       // 000000007938: E07C1000 8001386B
	s_waitcnt vmcnt(0) expcnt(0) lgkmcnt(0)                    // 000000007940: BF8C0000
	s_endpgm                                                   // 000000007944: BF810000
